;; amdgpu-corpus repo=ROCm/aiter kind=harvested arch=n/a opt=n/a

/root/src/amdgpu-assembly/repos/ROCm__aiter/hsa/gfx942/fmoe_2stages/fmoe_stage1_bf16_pertokenInt8_g1u1_16x192_pf3.co:	file format elf64-amdgpu

Disassembly of section .text:

0000000000002c00 <_ZN5aiter45fmoe_stage1_bf16_pertokenInt8_g1u1_16x192_pf3E>:
	s_and_b32 s1, s1, 0xffff                                   // 000000002C00: 8601FF01 0000FFFF
	s_load_dwordx2 s[8:9], s[0:1], 0x0                         // 000000002C08: C0060200 00000000
	s_load_dwordx2 s[20:21], s[0:1], 0x10                      // 000000002C10: C0060500 00000010
	s_load_dwordx2 s[24:25], s[0:1], 0x20                      // 000000002C18: C0060600 00000020
	s_load_dwordx2 s[48:49], s[0:1], 0x30                      // 000000002C20: C0060C00 00000030
	s_load_dwordx2 s[28:29], s[0:1], 0x40                      // 000000002C28: C0060700 00000040
	s_load_dwordx2 s[32:33], s[0:1], 0x50                      // 000000002C30: C0060800 00000050
	s_load_dwordx2 s[36:37], s[0:1], 0x60                      // 000000002C38: C0060900 00000060
	s_load_dwordx2 s[12:13], s[0:1], 0x70                      // 000000002C40: C0060300 00000070
	s_load_dwordx2 s[44:45], s[0:1], 0x80                      // 000000002C48: C0060B00 00000080
	s_mov_b32 s89, 0                                           // 000000002C50: BED90080
	s_load_dword s64, s[0:1], 0x90                             // 000000002C54: C0021000 00000090
	s_load_dword s65, s[0:1], 0xa0                             // 000000002C5C: C0021040 000000A0
	s_load_dword s66, s[0:1], 0xb0                             // 000000002C64: C0021080 000000B0
	s_load_dword s67, s[0:1], 0xc0                             // 000000002C6C: C00210C0 000000C0
	s_load_dword s68, s[0:1], 0xd0                             // 000000002C74: C0021100 000000D0
	s_load_dword s69, s[0:1], 0xe0                             // 000000002C7C: C0021140 000000E0
	s_load_dword s71, s[0:1], 0xf0                             // 000000002C84: C00211C0 000000F0
	s_load_dword s72, s[0:1], 0x100                            // 000000002C8C: C0021200 00000100
	s_load_dword s74, s[0:1], 0x110                            // 000000002C94: C0021280 00000110
	s_load_dword s76, s[0:1], 0x120                            // 000000002C9C: C0021300 00000120
	s_load_dword s56, s[0:1], 0x130                            // 000000002CA4: C0020E00 00000130
	s_load_dword s88, s[0:1], 0x140                            // 000000002CAC: C0021600 00000140
	s_load_dword s89, s[0:1], 0x150                            // 000000002CB4: C0021640 00000150
	v_lshrrev_b32_e32 v1, 10, v0                               // 000000002CBC: 2002008A
	v_lshrrev_b32_e32 v2, 10, v1                               // 000000002CC0: 2004028A
	v_and_b32_e32 v2, 0x3ff, v2                                // 000000002CC4: 260404FF 000003FF
	v_and_b32_e32 v1, 0x3ff, v1                                // 000000002CCC: 260202FF 000003FF
	v_and_b32_e32 v0, 0x3ff, v0                                // 000000002CD4: 260000FF 000003FF
	v_lshrrev_b32_e32 v3, 6, v0                                // 000000002CDC: 20060086
	v_and_b32_e32 v0, 63, v0                                   // 000000002CE0: 260000BF
	s_mov_b32 s2, s2                                           // 000000002CE4: BE820002
	s_mov_b32 s3, s3                                           // 000000002CE8: BE830003
	s_mov_b32 s4, s4                                           // 000000002CEC: BE840004
	v_readfirstlane_b32 s7, v3                                 // 000000002CF0: 7E0E0503
	s_waitcnt lgkmcnt(0)                                       // 000000002CF4: BF8CC07F
	s_and_b32 s49, s49, 0xffff                                 // 000000002CF8: 8631FF31 0000FFFF
	s_load_dword s48, s[48:49], 0x0                            // 000000002D00: C0020C18 00000000
	s_and_b32 s45, s45, 0xffff                                 // 000000002D08: 862DFF2D 0000FFFF
	s_and_b32 s9, s9, 0xffff                                   // 000000002D10: 8609FF09 0000FFFF
	s_mul_i32 s60, s66, s68                                    // 000000002D18: 923C4442
	s_mul_i32 s61, s66, 4                                      // 000000002D1C: 923D8442
	s_mov_b32 s22, s60                                         // 000000002D20: BE96003C
	s_mov_b32 s26, -16                                         // 000000002D24: BE9A00D0
	s_mov_b32 s30, s61                                         // 000000002D28: BE9E003D
	s_mov_b32 s14, 64                                          // 000000002D2C: BE8E00C0
	s_mov_b32 s38, -16                                         // 000000002D30: BEA600D0
	s_mov_b32 s10, -16                                         // 000000002D34: BE8A00D0
	s_mov_b32 s34, 0x300                                       // 000000002D38: BEA200FF 00000300
	s_mov_b32 s23, 0x20000                                     // 000000002D40: BE9700FF 00020000
	s_mov_b32 s27, 0x20000                                     // 000000002D48: BE9B00FF 00020000
	s_mov_b32 s31, 0x20000                                     // 000000002D50: BE9F00FF 00020000
	s_mov_b32 s35, 0x20000                                     // 000000002D58: BEA300FF 00020000
	s_mov_b32 s15, 0x20000                                     // 000000002D60: BE8F00FF 00020000
	s_mov_b32 s39, 0x20000                                     // 000000002D68: BEA700FF 00020000
	s_mov_b32 s11, 0x20000                                     // 000000002D70: BE8B00FF 00020000
	s_and_b32 s21, s21, 0xffff                                 // 000000002D78: 8615FF15 0000FFFF
	s_and_b32 s25, s25, 0xffff                                 // 000000002D80: 8619FF19 0000FFFF
	s_and_b32 s29, s29, 0xffff                                 // 000000002D88: 861DFF1D 0000FFFF
	s_and_b32 s33, s33, 0xffff                                 // 000000002D90: 8621FF21 0000FFFF
	s_and_b32 s13, s13, 0xffff                                 // 000000002D98: 860DFF0D 0000FFFF
	s_and_b32 s37, s37, 0xffff                                 // 000000002DA0: 8625FF25 0000FFFF
	s_or_b32 s21, s21, 0x40000                                 // 000000002DA8: 8715FF15 00040000
	s_or_b32 s25, s25, 0x40000                                 // 000000002DB0: 8719FF19 00040000
	s_or_b32 s29, s29, 0x40000                                 // 000000002DB8: 871DFF1D 00040000
	s_or_b32 s33, s33, 0x40000                                 // 000000002DC0: 8721FF21 00040000
	s_or_b32 s13, s13, 0x40000                                 // 000000002DC8: 870DFF0D 00040000
	s_or_b32 s37, s37, 0x40000                                 // 000000002DD0: 8725FF25 00040000
	v_accvgpr_write_b32 a87, 0                                 // 000000002DD8: D3D94057 18000080
	v_mov_b32_e32 v63, 0                                       // 000000002DE0: 7E7E0280
	s_waitcnt lgkmcnt(0)                                       // 000000002DE4: BF8CC07F
	s_mul_i32 s60, s3, 16                                      // 000000002DE8: 923C9003
	s_cmp_lt_i32 s60, s48                                      // 000000002DEC: BF04303C
	s_cbranch_scc0 label_0D70                                  // 000000002DF0: BF840CF0
	s_mov_b32 s80, 0                                           // 000000002DF4: BED00080
	s_lshr_b32 s81, s64, s88                                   // 000000002DF8: 8F515840
	s_mul_i32 s60, s3, 4                                       // 000000002DFC: 923C8403
	s_add_u32 s44, s60, s44                                    // 000000002E00: 802C2C3C
	s_addc_u32 s45, 0, s45                                     // 000000002E04: 822D2D80
	s_load_dword s5, s[44:45], 0x0                             // 000000002E08: C0020156 00000000
	s_mul_i32 s60, s3, 16                                      // 000000002E10: 923C9003
	s_mul_i32 s60, 4, s60                                      // 000000002E14: 923C3C84
	s_add_u32 s12, s60, s12                                    // 000000002E18: 800C0C3C
	s_addc_u32 s13, 0, s13                                     // 000000002E1C: 820D0D80
	v_and_b32_e32 v4, 15, v0                                   // 000000002E20: 2608008F
	v_lshlrev_b32_e32 v4, 2, v4                                // 000000002E24: 24080882
	buffer_load_dword v30, v4, s[12:15], 0 offen               // 000000002E28: E0501000 80031E04
	v_add_u32_e32 v4, 64, v4                                   // 000000002E30: 680808C0
	s_mul_i32 s60, 4, s7                                       // 000000002E34: 923C0784
	v_lshlrev_b32_e32 v4, 4, v0                                // 000000002E38: 24080084
	v_add_u32_e32 v4, s60, v4                                  // 000000002E3C: 6808083C
	buffer_load_dword v3, v4, s[12:15], 0 offen                // 000000002E40: E0501000 80030304
	v_mov_b32_e32 v40, 0                                       // 000000002E48: 7E500280
	v_mov_b32_e32 v52, 0                                       // 000000002E4C: 7E680280
	v_mov_b32_e32 v41, 0                                       // 000000002E50: 7E520280
	v_mov_b32_e32 v53, 0                                       // 000000002E54: 7E6A0280
	v_mov_b32_e32 v42, 0                                       // 000000002E58: 7E540280
	v_mov_b32_e32 v54, 0                                       // 000000002E5C: 7E6C0280
	v_mov_b32_e32 v43, 0                                       // 000000002E60: 7E560280
	v_mov_b32_e32 v55, 0                                       // 000000002E64: 7E6E0280
	v_mov_b32_e32 v44, 0                                       // 000000002E68: 7E580280
	v_mov_b32_e32 v56, 0                                       // 000000002E6C: 7E700280
	v_mov_b32_e32 v45, 0                                       // 000000002E70: 7E5A0280
	v_mov_b32_e32 v57, 0                                       // 000000002E74: 7E720280
	v_mov_b32_e32 v46, 0                                       // 000000002E78: 7E5C0280
	v_mov_b32_e32 v58, 0                                       // 000000002E7C: 7E740280
	v_mov_b32_e32 v47, 0                                       // 000000002E80: 7E5E0280
	v_mov_b32_e32 v59, 0                                       // 000000002E84: 7E760280
	v_mov_b32_e32 v48, 0                                       // 000000002E88: 7E600280
	v_mov_b32_e32 v60, 0                                       // 000000002E8C: 7E780280
	v_mov_b32_e32 v49, 0                                       // 000000002E90: 7E620280
	v_mov_b32_e32 v61, 0                                       // 000000002E94: 7E7A0280
	v_mov_b32_e32 v50, 0                                       // 000000002E98: 7E640280
	v_mov_b32_e32 v62, 0                                       // 000000002E9C: 7E7C0280
	v_mov_b32_e32 v51, 0                                       // 000000002EA0: 7E660280
	v_mov_b32_e32 v63, 0                                       // 000000002EA4: 7E7E0280
	s_mul_i32 s60, s2, 0x180                                   // 000000002EA8: 923CFF02 00000180
	s_cmp_eq_u32 s88, 0                                        // 000000002EB0: BF068058
	s_cselect_b32 s61, 1, 2                                    // 000000002EB4: 853D8281
	s_mul_i32 s60, s60, s61                                    // 000000002EB8: 923C3D3C
	s_mov_b32 s90, s8                                          // 000000002EBC: BEDA0008
	s_mov_b32 s91, s9                                          // 000000002EC0: BEDB0009
	s_add_u32 s8, s60, s8                                      // 000000002EC4: 8008083C
	s_addc_u32 s9, 0, s9                                       // 000000002EC8: 82090980
	v_lshrrev_b32_e32 v4, 4, v0                                // 000000002ECC: 20080084
	v_mul_lo_u32 v20, 34, v4                                   // 000000002ED0: D2850014 000208A2
	v_and_b32_e32 v4, 15, v0                                   // 000000002ED8: 2608008F
	v_mul_lo_u32 v5, 2, v4                                     // 000000002EDC: D2850005 00020882
	v_add_u32_e32 v20, v5, v20                                 // 000000002EE4: 68282905
	s_mul_i32 s60, s7, 0x88                                    // 000000002EE8: 923CFF07 00000088
	v_add_u32_e32 v20, s60, v20                                // 000000002EF0: 6828283C
	v_lshlrev_b32_e32 v20, 2, v20                              // 000000002EF4: 24282882
	v_and_b32_e32 v4, 31, v0                                   // 000000002EF8: 2608009F
	v_lshrrev_b32_e32 v4, 1, v4                                // 000000002EFC: 20080881
	v_mul_lo_u32 v21, 34, v4                                   // 000000002F00: D2850015 000208A2
	v_lshrrev_b32_e32 v4, 5, v0                                // 000000002F08: 20080085
	v_mul_lo_u32 v4, 8, v4                                     // 000000002F0C: D2850004 00020888
	v_add_u32_e32 v21, v21, v4                                 // 000000002F14: 682A0915
	v_and_b32_e32 v5, 1, v0                                    // 000000002F18: 260A0081
	v_add_u32_e32 v21, v5, v21                                 // 000000002F1C: 682A2B05
	s_mul_i32 s60, s7, 2                                       // 000000002F20: 923C8207
	v_add_u32_e32 v21, s60, v21                                // 000000002F24: 682A2A3C
	v_lshlrev_b32_e32 v21, 2, v21                              // 000000002F28: 242A2A82
	s_mul_i32 s60, s7, 0x220                                   // 000000002F2C: 923CFF07 00000220
	s_add_u32 s48, 0, s60                                      // 000000002F34: 80303C80
	s_add_u32 s49, 0x880, s48                                  // 000000002F38: 803130FF 00000880
	s_add_u32 s50, 0x880, s49                                  // 000000002F40: 803231FF 00000880
	v_lshrrev_b32_e32 v4, 4, v0                                // 000000002F48: 20080084
	v_lshlrev_b32_e32 v5, 2, v4                                // 000000002F4C: 240A0882
	v_and_b32_e32 v4, 15, v0                                   // 000000002F50: 2608008F
	v_lshrrev_b32_e32 v6, 2, v4                                // 000000002F54: 200C0882
	v_lshlrev_b32_e32 v6, 5, v6                                // 000000002F58: 240C0C85
	v_add_u32_e32 v5, v6, v5                                   // 000000002F5C: 680A0B06
	v_and_b32_e32 v4, 3, v0                                    // 000000002F60: 26080083
	v_mul_u32_u24_e32 v6, 0x88, v4                             // 000000002F64: 100C08FF 00000088
	v_add_u32_e32 v5, v6, v5                                   // 000000002F6C: 680A0B06
	v_lshlrev_b32_e32 v2, 2, v5                                // 000000002F70: 24040A82
	s_waitcnt lgkmcnt(0)                                       // 000000002F74: BF8CC07F
	s_mul_i32 s60, s2, 0xc0                                    // 000000002F78: 923CFF02 000000C0
	s_mul_i32 s60, s60, s69                                    // 000000002F80: 923C453C
	s_mul_i32 s61, s5, s72                                     // 000000002F84: 923D4805
	s_add_u32 s60, s61, s60                                    // 000000002F88: 803C3C3D
	s_add_u32 s24, s60, s24                                    // 000000002F8C: 8018183C
	s_addc_u32 s25, 0, s25                                     // 000000002F90: 82191980
	s_lshr_b32 s60, s64, s88                                   // 000000002F94: 8F3C5840
	s_mul_i32 s60, s4, s60                                     // 000000002F98: 923C3C04
	s_lshr_b32 s60, s60, 7                                     // 000000002F9C: 8F3C873C
	s_mul_i32 s60, s60, 0x800                                  // 000000002FA0: 923CFF3C 00000800
	s_add_u32 s24, s60, s24                                    // 000000002FA8: 8018183C
	s_addc_u32 s25, 0, s25                                     // 000000002FAC: 82191980
	s_lshr_b32 s60, s69, s88                                   // 000000002FB0: 8F3C5845
	s_mul_i32 s60, s4, s60                                     // 000000002FB4: 923C3C04
	s_add_u32 s20, s60, s20                                    // 000000002FB8: 8014143C
	s_addc_u32 s21, 0, s21                                     // 000000002FBC: 82151580
	s_mul_i32 s60, s7, 16                                      // 000000002FC0: 923C9007
	s_mul_i32 s60, s60, s69                                    // 000000002FC4: 923C453C
	v_lshlrev_b32_e32 v36, 4, v0                               // 000000002FC8: 24480084
	v_add_u32_e32 v36, s60, v36                                // 000000002FCC: 6848483C
	s_mul_i32 s60, 64, s69                                     // 000000002FD0: 923C45C0
	v_add_u32_e32 v37, s60, v36                                // 000000002FD4: 684A483C
	v_add_u32_e32 v38, s60, v37                                // 000000002FD8: 684C4A3C
	s_mov_b32 s84, s24                                         // 000000002FDC: BED40018
	s_mov_b32 s85, s25                                         // 000000002FE0: BED50019
	s_mov_b32 s86, s26                                         // 000000002FE4: BED6001A
	s_mov_b32 s87, s27                                         // 000000002FE8: BED7001B
	s_mul_i32 s60, s69, s65                                    // 000000002FEC: 923C4145
	s_add_u32 s84, s60, s84                                    // 000000002FF0: 8054543C
	s_addc_u32 s85, 0, s85                                     // 000000002FF4: 82555580
	v_lshrrev_b32_e32 v4, 4, v0                                // 000000002FF8: 20080084
	v_lshlrev_b32_e32 v5, 2, v4                                // 000000002FFC: 240A0882
	v_and_b32_e32 v4, 15, v0                                   // 000000003000: 2608008F
	v_lshrrev_b32_e32 v6, 2, v4                                // 000000003004: 200C0882
	v_lshlrev_b32_e32 v6, 6, v6                                // 000000003008: 240C0C86
	v_add_u32_e32 v5, v6, v5                                   // 00000000300C: 680A0B06
	v_and_b32_e32 v4, 3, v0                                    // 000000003010: 26080083
	v_add_u32_e32 v5, v4, v5                                   // 000000003014: 680A0B04
	v_lshlrev_b32_e32 v22, 2, v5                               // 000000003018: 242C0A82
	s_mul_i32 s60, s7, 16                                      // 00000000301C: 923C9007
	s_mul_i32 s60, s60, 4                                      // 000000003020: 923C843C
	v_add_u32_e32 v22, s60, v22                                // 000000003024: 682C2C3C
	s_mul_i32 s60, s2, 0xc0                                    // 000000003028: 923CFF02 000000C0
	s_mul_i32 s60, s60, 4                                      // 000000003030: 923C843C
	s_mul_i32 s61, s5, s74                                     // 000000003034: 923D4A05
	s_add_u32 s61, s61, s60                                    // 000000003038: 803D3C3D
	s_add_u32 s32, s61, s32                                    // 00000000303C: 8020203D
	s_addc_u32 s33, 0, s33                                     // 000000003040: 82212180
	s_mov_b32 s57, 0x80                                        // 000000003044: BEB900FF 00000080
	s_mov_b32 s58, 0x800                                       // 00000000304C: BEBA00FF 00000800
	s_mov_b32 s83, s58                                         // 000000003054: BED3003A
	s_mov_b32 s52, 0x7060302                                   // 000000003058: BEB400FF 07060302
	s_mov_b32 s53, 0x400                                       // 000000003060: BEB500FF 00000400
	s_mov_b32 s54, 0x40100                                     // 000000003068: BEB600FF 00040100
	s_mov_b32 s55, 0x4020100                                   // 000000003070: BEB700FF 04020100
	s_mov_b32 s6, 0x3fb8aa3b                                   // 000000003078: BE8600FF 3FB8AA3B
	s_mov_b32 s78, 0xbd92220c                                  // 000000003080: BECE00FF BD92220C
	s_mov_b32 s79, 0xbd92220c                                  // 000000003088: BECF00FF BD92220C
	s_mov_b32 m0, s48                                          // 000000003090: BEFC0030
	v_mov_b32_e32 v1, 0xbfcc4231                               // 000000003094: 7E0202FF BFCC4231
	v_mov_b32_e32 v17, 0xffff0000                              // 00000000309C: 7E2202FF FFFF0000
	v_mov_b32_e32 v18, 0x7fff0000                              // 0000000030A4: 7E2402FF 7FFF0000
	v_mov_b32_e32 v19, 0x7fff                                  // 0000000030AC: 7E2602FF 00007FFF
	s_waitcnt vmcnt(0) expcnt(0) lgkmcnt(0)                    // 0000000030B4: BF8C0000
	v_lshrrev_b32_e32 v4, 5, v0                                // 0000000030B8: 20080085
	v_xor_b32_e32 v5, 1, v4                                    // 0000000030BC: 2A0A0881
	v_readlane_b32 s82, v3, 0                                  // 0000000030C0: D2890052 00010103
	s_and_b32 s82, s82, 0xffffff                               // 0000000030C8: 8652FF52 00FFFFFF
	v_mul_lo_u32 v6, v5, s82                                   // 0000000030D0: D2850006 0000A505
	v_readlane_b32 s82, v3, 1                                  // 0000000030D8: D2890052 00010303
	s_and_b32 s82, s82, 0xffffff                               // 0000000030E0: 8652FF52 00FFFFFF
	v_mul_lo_u32 v7, v4, s82                                   // 0000000030E8: D2850007 0000A504
	v_add_u32_e32 v34, v6, v7                                  // 0000000030F0: 68440F06
	v_mul_lo_u32 v34, v34, s68                                 // 0000000030F4: D2850022 00008922
	v_readlane_b32 s82, v3, 2                                  // 0000000030FC: D2890052 00010503
	s_and_b32 s82, s82, 0xffffff                               // 000000003104: 8652FF52 00FFFFFF
	v_mul_lo_u32 v6, v5, s82                                   // 00000000310C: D2850006 0000A505
	v_readlane_b32 s82, v3, 3                                  // 000000003114: D2890052 00010703
	s_and_b32 s82, s82, 0xffffff                               // 00000000311C: 8652FF52 00FFFFFF
	v_mul_lo_u32 v7, v4, s82                                   // 000000003124: D2850007 0000A504
	v_add_u32_e32 v35, v6, v7                                  // 00000000312C: 68460F06
	v_mul_lo_u32 v35, v35, s68                                 // 000000003130: D2850023 00008923
	v_and_b32_e32 v4, 31, v0                                   // 000000003138: 2608009F
	v_lshlrev_b32_e32 v4, 2, v4                                // 00000000313C: 24080882
	v_add_u32_e32 v34, v34, v4                                 // 000000003140: 68440922
	v_add_u32_e32 v35, v35, v4                                 // 000000003144: 68460923
	v_and_b32_e32 v30, 0xffffff, v30                           // 000000003148: 263C3CFF 00FFFFFF
	v_lshlrev_b32_e32 v30, 2, v30                              // 000000003150: 243C3C82
	s_lshl_b32 s3, s66, 2                                      // 000000003154: 8E038242
	buffer_load_dword v31, v30, s[28:31], 0 offen              // 000000003158: E0501000 80071F1E
	buffer_load_dword v24, v22, s[32:35], 0 offen              // 000000003160: E0501000 80081816
	s_mul_i32 s60, 4, s65                                      // 000000003168: 923C4184
	s_add_u32 s32, s60, s32                                    // 00000000316C: 8020203C
	s_addc_u32 s33, 0, s33                                     // 000000003170: 82212180
	buffer_load_dword v27, v22, s[32:35], 0 offen              // 000000003174: E0501000 80081B16
	buffer_load_dword v34, s[20:23], 0 offen lds               // 00000000317C: E0511000 80050022
	s_add_u32 m0, 0x100, s48                                   // 000000003184: 807C30FF 00000100
	buffer_load_dword v35, s[20:23], 0 offen lds               // 00000000318C: E0511000 80050023
	s_add_u32 m0, 0, s49                                       // 000000003194: 807C3180
	s_add_u32 s20, s57, s20                                    // 000000003198: 80141439
	s_addc_u32 s21, 0, s21                                     // 00000000319C: 82151580
	buffer_load_dwordx4 a[16:19], v36, s[24:27], 0 offen       // 0000000031A0: E05C1000 80861024
	buffer_load_dwordx4 a[20:23], v36, s[24:27], 0 offen offset:1024// 0000000031A8: E05C1400 80861424
	buffer_load_dwordx4 a[24:27], v37, s[24:27], 0 offen       // 0000000031B0: E05C1000 80861825
	buffer_load_dwordx4 a[28:31], v37, s[24:27], 0 offen offset:1024// 0000000031B8: E05C1400 80861C25
	buffer_load_dwordx4 a[32:35], v38, s[24:27], 0 offen       // 0000000031C0: E05C1000 80862026
	buffer_load_dwordx4 a[36:39], v38, s[24:27], 0 offen offset:1024// 0000000031C8: E05C1400 80862426
	s_add_u32 s24, s58, s24                                    // 0000000031D0: 8018183A
	s_addc_u32 s25, 0, s25                                     // 0000000031D4: 82191980
	buffer_load_dword v34, s[20:23], 0 offen lds               // 0000000031D8: E0511000 80050022
	s_add_u32 m0, 0x100, s49                                   // 0000000031E0: 807C31FF 00000100
	buffer_load_dword v35, s[20:23], 0 offen lds               // 0000000031E8: E0511000 80050023
	s_add_u32 m0, 0, s50                                       // 0000000031F0: 807C3280
	s_add_u32 s20, s57, s20                                    // 0000000031F4: 80141439
	s_addc_u32 s21, 0, s21                                     // 0000000031F8: 82151580
	buffer_load_dwordx4 a[40:43], v36, s[84:87], 0 offen       // 0000000031FC: E05C1000 80952824
	buffer_load_dwordx4 a[44:47], v36, s[84:87], 0 offen offset:1024// 000000003204: E05C1400 80952C24
	buffer_load_dwordx4 a[48:51], v37, s[84:87], 0 offen       // 00000000320C: E05C1000 80953025
	buffer_load_dwordx4 a[52:55], v37, s[84:87], 0 offen offset:1024// 000000003214: E05C1400 80953425
	buffer_load_dwordx4 a[56:59], v38, s[84:87], 0 offen       // 00000000321C: E05C1000 80953826
	buffer_load_dwordx4 a[60:63], v38, s[84:87], 0 offen offset:1024// 000000003224: E05C1400 80953C26
	s_add_u32 s84, s83, s84                                    // 00000000322C: 80545453
	s_addc_u32 s85, 0, s85                                     // 000000003230: 82555580
	s_waitcnt vmcnt(14)                                        // 000000003234: BF8C0F7E
	s_barrier                                                  // 000000003238: BF8A0000
	ds_read_b128 a[0:3], v2                                    // 00000000323C: DBFE0000 00000002
	ds_read_b128 a[4:7], v2 offset:64                          // 000000003244: DBFE0040 04000002
	s_cmp_lt_i32 s7, 2                                         // 00000000324C: BF048207
	s_cbranch_scc0 label_0784                                  // 000000003250: BF8405EC

0000000000003254 <label_0195>:
	s_waitcnt vmcnt(8) lgkmcnt(0)                              // 000000003254: BF8C0078
	v_mfma_i32_16x16x32_i8 v[40:43], a[16:17], a[0:1], v[40:43]// 000000003258: D3D70028 1CA20110
	v_mfma_i32_16x16x32_i8 v[40:43], a[18:19], a[2:3], v[40:43]// 000000003260: D3D70028 1CA20512
	buffer_load_dwordx4 a[64:67], v36, s[24:27], 0 offen       // 000000003268: E05C1000 80864024
	v_mfma_i32_16x16x32_i8 v[40:43], a[20:21], a[4:5], v[40:43]// 000000003270: D3D70028 1CA20914
	v_mfma_i32_16x16x32_i8 v[40:43], a[22:23], a[6:7], v[40:43]// 000000003278: D3D70028 1CA20D16
	v_mfma_i32_16x16x32_i8 v[44:47], a[24:25], a[0:1], v[44:47]// 000000003280: D3D7002C 1CB20118
	v_mfma_i32_16x16x32_i8 v[44:47], a[26:27], a[2:3], v[44:47]// 000000003288: D3D7002C 1CB2051A
	buffer_load_dwordx4 a[68:71], v36, s[24:27], 0 offen offset:1024// 000000003290: E05C1400 80864424
	v_mfma_i32_16x16x32_i8 v[44:47], a[28:29], a[4:5], v[44:47]// 000000003298: D3D7002C 1CB2091C
	v_mfma_i32_16x16x32_i8 v[44:47], a[30:31], a[6:7], v[44:47]// 0000000032A0: D3D7002C 1CB20D1E
	v_mfma_i32_16x16x32_i8 v[48:51], a[32:33], a[0:1], v[48:51]// 0000000032A8: D3D70030 1CC20120
	v_mfma_i32_16x16x32_i8 v[48:51], a[34:35], a[2:3], v[48:51]// 0000000032B0: D3D70030 1CC20522
	buffer_load_dwordx4 a[72:75], v37, s[24:27], 0 offen       // 0000000032B8: E05C1000 80864825
	v_mfma_i32_16x16x32_i8 v[48:51], a[36:37], a[4:5], v[48:51]// 0000000032C0: D3D70030 1CC20924
	v_mfma_i32_16x16x32_i8 v[48:51], a[38:39], a[6:7], v[48:51]// 0000000032C8: D3D70030 1CC20D26
	buffer_load_dwordx4 a[76:79], v37, s[24:27], 0 offen offset:1024// 0000000032D0: E05C1400 80864C25
	buffer_load_dwordx4 a[80:83], v38, s[24:27], 0 offen       // 0000000032D8: E05C1000 80865026
	buffer_load_dwordx4 a[84:87], v38, s[24:27], 0 offen offset:1024// 0000000032E0: E05C1400 80865426
	buffer_load_dword v34, s[20:23], 0 offen lds               // 0000000032E8: E0511000 80050022
	s_add_u32 m0, 0x100, s50                                   // 0000000032F0: 807C32FF 00000100
	buffer_load_dword v35, s[20:23], 0 offen lds               // 0000000032F8: E0511000 80050023
	s_add_u32 m0, 0, s48                                       // 000000003300: 807C3080
	s_waitcnt vmcnt(8)                                         // 000000003304: BF8C0F78
	s_barrier                                                  // 000000003308: BF8A0000
	v_mfma_i32_16x16x32_i8 v[52:55], a[40:41], a[0:1], v[52:55]// 00000000330C: D3D70034 1CD20128
	v_mfma_i32_16x16x32_i8 v[52:55], a[42:43], a[2:3], v[52:55]// 000000003314: D3D70034 1CD2052A
	buffer_load_dwordx4 a[16:19], v36, s[84:87], 0 offen       // 00000000331C: E05C1000 80951024
	v_mfma_i32_16x16x32_i8 v[52:55], a[44:45], a[4:5], v[52:55]// 000000003324: D3D70034 1CD2092C
	v_mfma_i32_16x16x32_i8 v[52:55], a[46:47], a[6:7], v[52:55]// 00000000332C: D3D70034 1CD20D2E
	ds_read_b128 a[8:11], v2 offset:2176                       // 000000003334: DBFE0880 08000002
	ds_read_b128 a[12:15], v2 offset:2240                      // 00000000333C: DBFE08C0 0C000002
	v_mfma_i32_16x16x32_i8 v[56:59], a[48:49], a[0:1], v[56:59]// 000000003344: D3D70038 1CE20130
	s_add_u32 s60, 0x180, s80                                  // 00000000334C: 803C50FF 00000180
	s_cmp_lt_u32 s60, s81                                      // 000000003354: BF0A513C
	s_cselect_b32 s57, s57, 0                                  // 000000003358: 85398039
	v_mfma_i32_16x16x32_i8 v[56:59], a[50:51], a[2:3], v[56:59]// 00000000335C: D3D70038 1CE20532
	buffer_load_dwordx4 a[20:23], v36, s[84:87], 0 offen offset:1024// 000000003364: E05C1400 80951424
	s_add_u32 s60, 0x100, s80                                  // 00000000336C: 803C50FF 00000100
	s_cmp_lt_u32 s60, s81                                      // 000000003374: BF0A513C
	s_cselect_b32 s58, s58, 0                                  // 000000003378: 853A803A
	v_mfma_i32_16x16x32_i8 v[56:59], a[52:53], a[4:5], v[56:59]// 00000000337C: D3D70038 1CE20934
	s_add_u32 s60, 0x100, s80                                  // 000000003384: 803C50FF 00000100
	s_cmp_lt_u32 s60, s81                                      // 00000000338C: BF0A513C
	s_cselect_b32 s83, s83, 0                                  // 000000003390: 85538053
	v_mfma_i32_16x16x32_i8 v[56:59], a[54:55], a[6:7], v[56:59]// 000000003394: D3D70038 1CE20D36
	s_add_u32 s24, s58, s24                                    // 00000000339C: 8018183A
	s_addc_u32 s25, 0, s25                                     // 0000000033A0: 82191980
	v_mfma_i32_16x16x32_i8 v[60:63], a[56:57], a[0:1], v[60:63]// 0000000033A4: D3D7003C 1CF20138
	s_add_u32 s20, s57, s20                                    // 0000000033AC: 80141439
	s_addc_u32 s21, 0, s21                                     // 0000000033B0: 82151580
	v_mfma_i32_16x16x32_i8 v[60:63], a[58:59], a[2:3], v[60:63]// 0000000033B4: D3D7003C 1CF2053A
	buffer_load_dwordx4 a[24:27], v37, s[84:87], 0 offen       // 0000000033BC: E05C1000 80951825
	v_mfma_i32_16x16x32_i8 v[60:63], a[60:61], a[4:5], v[60:63]// 0000000033C4: D3D7003C 1CF2093C
	v_mfma_i32_16x16x32_i8 v[60:63], a[62:63], a[6:7], v[60:63]// 0000000033CC: D3D7003C 1CF20D3E
	buffer_load_dwordx4 a[28:31], v37, s[84:87], 0 offen offset:1024// 0000000033D4: E05C1400 80951C25
	buffer_load_dwordx4 a[32:35], v38, s[84:87], 0 offen       // 0000000033DC: E05C1000 80952026
	buffer_load_dwordx4 a[36:39], v38, s[84:87], 0 offen offset:1024// 0000000033E4: E05C1400 80952426
	s_add_u32 s84, s83, s84                                    // 0000000033EC: 80545453
	s_addc_u32 s85, 0, s85                                     // 0000000033F0: 82555580
	s_addk_i32 s80, 0x80                                       // 0000000033F4: B7500080
	s_cmp_lt_i32 s80, s81                                      // 0000000033F8: BF045150
	s_cbranch_scc0 label_0418                                  // 0000000033FC: BF840218
	s_waitcnt vmcnt(8) lgkmcnt(0)                              // 000000003400: BF8C0078
	v_mfma_i32_16x16x32_i8 v[40:43], a[64:65], a[8:9], v[40:43]// 000000003404: D3D70028 1CA21140
	v_mfma_i32_16x16x32_i8 v[40:43], a[66:67], a[10:11], v[40:43]// 00000000340C: D3D70028 1CA21542
	buffer_load_dwordx4 a[40:43], v36, s[24:27], 0 offen       // 000000003414: E05C1000 80862824
	v_mfma_i32_16x16x32_i8 v[40:43], a[68:69], a[12:13], v[40:43]// 00000000341C: D3D70028 1CA21944
	v_mfma_i32_16x16x32_i8 v[40:43], a[70:71], a[14:15], v[40:43]// 000000003424: D3D70028 1CA21D46
	v_mfma_i32_16x16x32_i8 v[44:47], a[72:73], a[8:9], v[44:47]// 00000000342C: D3D7002C 1CB21148
	v_mfma_i32_16x16x32_i8 v[44:47], a[74:75], a[10:11], v[44:47]// 000000003434: D3D7002C 1CB2154A
	buffer_load_dwordx4 a[44:47], v36, s[24:27], 0 offen offset:1024// 00000000343C: E05C1400 80862C24
	v_mfma_i32_16x16x32_i8 v[44:47], a[76:77], a[12:13], v[44:47]// 000000003444: D3D7002C 1CB2194C
	v_mfma_i32_16x16x32_i8 v[44:47], a[78:79], a[14:15], v[44:47]// 00000000344C: D3D7002C 1CB21D4E
	v_mfma_i32_16x16x32_i8 v[48:51], a[80:81], a[8:9], v[48:51]// 000000003454: D3D70030 1CC21150
	v_mfma_i32_16x16x32_i8 v[48:51], a[82:83], a[10:11], v[48:51]// 00000000345C: D3D70030 1CC21552
	buffer_load_dwordx4 a[48:51], v37, s[24:27], 0 offen       // 000000003464: E05C1000 80863025
	v_mfma_i32_16x16x32_i8 v[48:51], a[84:85], a[12:13], v[48:51]// 00000000346C: D3D70030 1CC21954
	v_mfma_i32_16x16x32_i8 v[48:51], a[86:87], a[14:15], v[48:51]// 000000003474: D3D70030 1CC21D56
	buffer_load_dwordx4 a[52:55], v37, s[24:27], 0 offen offset:1024// 00000000347C: E05C1400 80863425
	buffer_load_dwordx4 a[56:59], v38, s[24:27], 0 offen       // 000000003484: E05C1000 80863826
	buffer_load_dwordx4 a[60:63], v38, s[24:27], 0 offen offset:1024// 00000000348C: E05C1400 80863C26
	buffer_load_dword v34, s[20:23], 0 offen lds               // 000000003494: E0511000 80050022
	s_add_u32 m0, 0x100, s48                                   // 00000000349C: 807C30FF 00000100
	buffer_load_dword v35, s[20:23], 0 offen lds               // 0000000034A4: E0511000 80050023
	s_add_u32 m0, 0, s49                                       // 0000000034AC: 807C3180
	s_waitcnt vmcnt(8)                                         // 0000000034B0: BF8C0F78
	s_barrier                                                  // 0000000034B4: BF8A0000
	v_mfma_i32_16x16x32_i8 v[52:55], a[16:17], a[8:9], v[52:55]// 0000000034B8: D3D70034 1CD21110
	v_mfma_i32_16x16x32_i8 v[52:55], a[18:19], a[10:11], v[52:55]// 0000000034C0: D3D70034 1CD21512
	buffer_load_dwordx4 a[64:67], v36, s[84:87], 0 offen       // 0000000034C8: E05C1000 80954024
	v_mfma_i32_16x16x32_i8 v[52:55], a[20:21], a[12:13], v[52:55]// 0000000034D0: D3D70034 1CD21914
	v_mfma_i32_16x16x32_i8 v[52:55], a[22:23], a[14:15], v[52:55]// 0000000034D8: D3D70034 1CD21D16
	ds_read_b128 a[0:3], v2 offset:4352                        // 0000000034E0: DBFE1100 00000002
	ds_read_b128 a[4:7], v2 offset:4416                        // 0000000034E8: DBFE1140 04000002
	v_mfma_i32_16x16x32_i8 v[56:59], a[24:25], a[8:9], v[56:59]// 0000000034F0: D3D70038 1CE21118
	s_add_u32 s60, 0x180, s80                                  // 0000000034F8: 803C50FF 00000180
	s_cmp_lt_u32 s60, s81                                      // 000000003500: BF0A513C
	s_cselect_b32 s57, s57, 0                                  // 000000003504: 85398039
	v_mfma_i32_16x16x32_i8 v[56:59], a[26:27], a[10:11], v[56:59]// 000000003508: D3D70038 1CE2151A
	buffer_load_dwordx4 a[68:71], v36, s[84:87], 0 offen offset:1024// 000000003510: E05C1400 80954424
	s_add_u32 s60, 0x100, s80                                  // 000000003518: 803C50FF 00000100
	s_cmp_lt_u32 s60, s81                                      // 000000003520: BF0A513C
	s_cselect_b32 s58, s58, 0                                  // 000000003524: 853A803A
	v_mfma_i32_16x16x32_i8 v[56:59], a[28:29], a[12:13], v[56:59]// 000000003528: D3D70038 1CE2191C
	s_add_u32 s60, 0x100, s80                                  // 000000003530: 803C50FF 00000100
	s_cmp_lt_u32 s60, s81                                      // 000000003538: BF0A513C
	s_cselect_b32 s83, s83, 0                                  // 00000000353C: 85538053
	v_mfma_i32_16x16x32_i8 v[56:59], a[30:31], a[14:15], v[56:59]// 000000003540: D3D70038 1CE21D1E
	s_add_u32 s24, s58, s24                                    // 000000003548: 8018183A
	s_addc_u32 s25, 0, s25                                     // 00000000354C: 82191980
	v_mfma_i32_16x16x32_i8 v[60:63], a[32:33], a[8:9], v[60:63]// 000000003550: D3D7003C 1CF21120
	s_add_u32 s20, s57, s20                                    // 000000003558: 80141439
	s_addc_u32 s21, 0, s21                                     // 00000000355C: 82151580
	v_mfma_i32_16x16x32_i8 v[60:63], a[34:35], a[10:11], v[60:63]// 000000003560: D3D7003C 1CF21522
	buffer_load_dwordx4 a[72:75], v37, s[84:87], 0 offen       // 000000003568: E05C1000 80954825
	v_mfma_i32_16x16x32_i8 v[60:63], a[36:37], a[12:13], v[60:63]// 000000003570: D3D7003C 1CF21924
	v_mfma_i32_16x16x32_i8 v[60:63], a[38:39], a[14:15], v[60:63]// 000000003578: D3D7003C 1CF21D26
	buffer_load_dwordx4 a[76:79], v37, s[84:87], 0 offen offset:1024// 000000003580: E05C1400 80954C25
	buffer_load_dwordx4 a[80:83], v38, s[84:87], 0 offen       // 000000003588: E05C1000 80955026
	buffer_load_dwordx4 a[84:87], v38, s[84:87], 0 offen offset:1024// 000000003590: E05C1400 80955426
	s_add_u32 s84, s83, s84                                    // 000000003598: 80545453
	s_addc_u32 s85, 0, s85                                     // 00000000359C: 82555580
	s_addk_i32 s80, 0x80                                       // 0000000035A0: B7500080
	s_cmp_lt_i32 s80, s81                                      // 0000000035A4: BF045150
	s_cbranch_scc0 label_0418                                  // 0000000035A8: BF8401AD
	s_waitcnt vmcnt(8) lgkmcnt(0)                              // 0000000035AC: BF8C0078
	v_mfma_i32_16x16x32_i8 v[40:43], a[40:41], a[0:1], v[40:43]// 0000000035B0: D3D70028 1CA20128
	v_mfma_i32_16x16x32_i8 v[40:43], a[42:43], a[2:3], v[40:43]// 0000000035B8: D3D70028 1CA2052A
	buffer_load_dwordx4 a[16:19], v36, s[24:27], 0 offen       // 0000000035C0: E05C1000 80861024
	v_mfma_i32_16x16x32_i8 v[40:43], a[44:45], a[4:5], v[40:43]// 0000000035C8: D3D70028 1CA2092C
	v_mfma_i32_16x16x32_i8 v[40:43], a[46:47], a[6:7], v[40:43]// 0000000035D0: D3D70028 1CA20D2E
	v_mfma_i32_16x16x32_i8 v[44:47], a[48:49], a[0:1], v[44:47]// 0000000035D8: D3D7002C 1CB20130
	v_mfma_i32_16x16x32_i8 v[44:47], a[50:51], a[2:3], v[44:47]// 0000000035E0: D3D7002C 1CB20532
	buffer_load_dwordx4 a[20:23], v36, s[24:27], 0 offen offset:1024// 0000000035E8: E05C1400 80861424
	v_mfma_i32_16x16x32_i8 v[44:47], a[52:53], a[4:5], v[44:47]// 0000000035F0: D3D7002C 1CB20934
	v_mfma_i32_16x16x32_i8 v[44:47], a[54:55], a[6:7], v[44:47]// 0000000035F8: D3D7002C 1CB20D36
	v_mfma_i32_16x16x32_i8 v[48:51], a[56:57], a[0:1], v[48:51]// 000000003600: D3D70030 1CC20138
	v_mfma_i32_16x16x32_i8 v[48:51], a[58:59], a[2:3], v[48:51]// 000000003608: D3D70030 1CC2053A
	buffer_load_dwordx4 a[24:27], v37, s[24:27], 0 offen       // 000000003610: E05C1000 80861825
	v_mfma_i32_16x16x32_i8 v[48:51], a[60:61], a[4:5], v[48:51]// 000000003618: D3D70030 1CC2093C
	v_mfma_i32_16x16x32_i8 v[48:51], a[62:63], a[6:7], v[48:51]// 000000003620: D3D70030 1CC20D3E
	buffer_load_dwordx4 a[28:31], v37, s[24:27], 0 offen offset:1024// 000000003628: E05C1400 80861C25
	buffer_load_dwordx4 a[32:35], v38, s[24:27], 0 offen       // 000000003630: E05C1000 80862026
	buffer_load_dwordx4 a[36:39], v38, s[24:27], 0 offen offset:1024// 000000003638: E05C1400 80862426
	buffer_load_dword v34, s[20:23], 0 offen lds               // 000000003640: E0511000 80050022
	s_add_u32 m0, 0x100, s49                                   // 000000003648: 807C31FF 00000100
	buffer_load_dword v35, s[20:23], 0 offen lds               // 000000003650: E0511000 80050023
	s_add_u32 m0, 0, s50                                       // 000000003658: 807C3280
	s_waitcnt vmcnt(8)                                         // 00000000365C: BF8C0F78
	s_barrier                                                  // 000000003660: BF8A0000
	v_mfma_i32_16x16x32_i8 v[52:55], a[64:65], a[0:1], v[52:55]// 000000003664: D3D70034 1CD20140
	v_mfma_i32_16x16x32_i8 v[52:55], a[66:67], a[2:3], v[52:55]// 00000000366C: D3D70034 1CD20542
	buffer_load_dwordx4 a[40:43], v36, s[84:87], 0 offen       // 000000003674: E05C1000 80952824
	v_mfma_i32_16x16x32_i8 v[52:55], a[68:69], a[4:5], v[52:55]// 00000000367C: D3D70034 1CD20944
	v_mfma_i32_16x16x32_i8 v[52:55], a[70:71], a[6:7], v[52:55]// 000000003684: D3D70034 1CD20D46
	ds_read_b128 a[8:11], v2                                   // 00000000368C: DBFE0000 08000002
	ds_read_b128 a[12:15], v2 offset:64                        // 000000003694: DBFE0040 0C000002
	v_mfma_i32_16x16x32_i8 v[56:59], a[72:73], a[0:1], v[56:59]// 00000000369C: D3D70038 1CE20148
	s_add_u32 s60, 0x180, s80                                  // 0000000036A4: 803C50FF 00000180
	s_cmp_lt_u32 s60, s81                                      // 0000000036AC: BF0A513C
	s_cselect_b32 s57, s57, 0                                  // 0000000036B0: 85398039
	v_mfma_i32_16x16x32_i8 v[56:59], a[74:75], a[2:3], v[56:59]// 0000000036B4: D3D70038 1CE2054A
	buffer_load_dwordx4 a[44:47], v36, s[84:87], 0 offen offset:1024// 0000000036BC: E05C1400 80952C24
	s_add_u32 s60, 0x100, s80                                  // 0000000036C4: 803C50FF 00000100
	s_cmp_lt_u32 s60, s81                                      // 0000000036CC: BF0A513C
	s_cselect_b32 s58, s58, 0                                  // 0000000036D0: 853A803A
	v_mfma_i32_16x16x32_i8 v[56:59], a[76:77], a[4:5], v[56:59]// 0000000036D4: D3D70038 1CE2094C
	s_add_u32 s60, 0x100, s80                                  // 0000000036DC: 803C50FF 00000100
	s_cmp_lt_u32 s60, s81                                      // 0000000036E4: BF0A513C
	s_cselect_b32 s83, s83, 0                                  // 0000000036E8: 85538053
	v_mfma_i32_16x16x32_i8 v[56:59], a[78:79], a[6:7], v[56:59]// 0000000036EC: D3D70038 1CE20D4E
	s_add_u32 s24, s58, s24                                    // 0000000036F4: 8018183A
	s_addc_u32 s25, 0, s25                                     // 0000000036F8: 82191980
	v_mfma_i32_16x16x32_i8 v[60:63], a[80:81], a[0:1], v[60:63]// 0000000036FC: D3D7003C 1CF20150
	s_add_u32 s20, s57, s20                                    // 000000003704: 80141439
	s_addc_u32 s21, 0, s21                                     // 000000003708: 82151580
	v_mfma_i32_16x16x32_i8 v[60:63], a[82:83], a[2:3], v[60:63]// 00000000370C: D3D7003C 1CF20552
	buffer_load_dwordx4 a[48:51], v37, s[84:87], 0 offen       // 000000003714: E05C1000 80953025
	v_mfma_i32_16x16x32_i8 v[60:63], a[84:85], a[4:5], v[60:63]// 00000000371C: D3D7003C 1CF20954
	v_mfma_i32_16x16x32_i8 v[60:63], a[86:87], a[6:7], v[60:63]// 000000003724: D3D7003C 1CF20D56
	buffer_load_dwordx4 a[52:55], v37, s[84:87], 0 offen offset:1024// 00000000372C: E05C1400 80953425
	buffer_load_dwordx4 a[56:59], v38, s[84:87], 0 offen       // 000000003734: E05C1000 80953826
	buffer_load_dwordx4 a[60:63], v38, s[84:87], 0 offen offset:1024// 00000000373C: E05C1400 80953C26
	s_add_u32 s84, s83, s84                                    // 000000003744: 80545453
	s_addc_u32 s85, 0, s85                                     // 000000003748: 82555580
	s_addk_i32 s80, 0x80                                       // 00000000374C: B7500080
	s_cmp_lt_i32 s80, s81                                      // 000000003750: BF045150
	s_cbranch_scc0 label_0418                                  // 000000003754: BF840142
	s_waitcnt vmcnt(8) lgkmcnt(0)                              // 000000003758: BF8C0078
	v_mfma_i32_16x16x32_i8 v[40:43], a[16:17], a[8:9], v[40:43]// 00000000375C: D3D70028 1CA21110
	v_mfma_i32_16x16x32_i8 v[40:43], a[18:19], a[10:11], v[40:43]// 000000003764: D3D70028 1CA21512
	buffer_load_dwordx4 a[64:67], v36, s[24:27], 0 offen       // 00000000376C: E05C1000 80864024
	v_mfma_i32_16x16x32_i8 v[40:43], a[20:21], a[12:13], v[40:43]// 000000003774: D3D70028 1CA21914
	v_mfma_i32_16x16x32_i8 v[40:43], a[22:23], a[14:15], v[40:43]// 00000000377C: D3D70028 1CA21D16
	v_mfma_i32_16x16x32_i8 v[44:47], a[24:25], a[8:9], v[44:47]// 000000003784: D3D7002C 1CB21118
	v_mfma_i32_16x16x32_i8 v[44:47], a[26:27], a[10:11], v[44:47]// 00000000378C: D3D7002C 1CB2151A
	buffer_load_dwordx4 a[68:71], v36, s[24:27], 0 offen offset:1024// 000000003794: E05C1400 80864424
	v_mfma_i32_16x16x32_i8 v[44:47], a[28:29], a[12:13], v[44:47]// 00000000379C: D3D7002C 1CB2191C
	v_mfma_i32_16x16x32_i8 v[44:47], a[30:31], a[14:15], v[44:47]// 0000000037A4: D3D7002C 1CB21D1E
	v_mfma_i32_16x16x32_i8 v[48:51], a[32:33], a[8:9], v[48:51]// 0000000037AC: D3D70030 1CC21120
	v_mfma_i32_16x16x32_i8 v[48:51], a[34:35], a[10:11], v[48:51]// 0000000037B4: D3D70030 1CC21522
	buffer_load_dwordx4 a[72:75], v37, s[24:27], 0 offen       // 0000000037BC: E05C1000 80864825
	v_mfma_i32_16x16x32_i8 v[48:51], a[36:37], a[12:13], v[48:51]// 0000000037C4: D3D70030 1CC21924
	v_mfma_i32_16x16x32_i8 v[48:51], a[38:39], a[14:15], v[48:51]// 0000000037CC: D3D70030 1CC21D26
	buffer_load_dwordx4 a[76:79], v37, s[24:27], 0 offen offset:1024// 0000000037D4: E05C1400 80864C25
	buffer_load_dwordx4 a[80:83], v38, s[24:27], 0 offen       // 0000000037DC: E05C1000 80865026
	buffer_load_dwordx4 a[84:87], v38, s[24:27], 0 offen offset:1024// 0000000037E4: E05C1400 80865426
	buffer_load_dword v34, s[20:23], 0 offen lds               // 0000000037EC: E0511000 80050022
	s_add_u32 m0, 0x100, s50                                   // 0000000037F4: 807C32FF 00000100
	buffer_load_dword v35, s[20:23], 0 offen lds               // 0000000037FC: E0511000 80050023
	s_add_u32 m0, 0, s48                                       // 000000003804: 807C3080
	s_waitcnt vmcnt(8)                                         // 000000003808: BF8C0F78
	s_barrier                                                  // 00000000380C: BF8A0000
	v_mfma_i32_16x16x32_i8 v[52:55], a[40:41], a[8:9], v[52:55]// 000000003810: D3D70034 1CD21128
	v_mfma_i32_16x16x32_i8 v[52:55], a[42:43], a[10:11], v[52:55]// 000000003818: D3D70034 1CD2152A
	buffer_load_dwordx4 a[16:19], v36, s[84:87], 0 offen       // 000000003820: E05C1000 80951024
	v_mfma_i32_16x16x32_i8 v[52:55], a[44:45], a[12:13], v[52:55]// 000000003828: D3D70034 1CD2192C
	v_mfma_i32_16x16x32_i8 v[52:55], a[46:47], a[14:15], v[52:55]// 000000003830: D3D70034 1CD21D2E
	ds_read_b128 a[0:3], v2 offset:2176                        // 000000003838: DBFE0880 00000002
	ds_read_b128 a[4:7], v2 offset:2240                        // 000000003840: DBFE08C0 04000002
	v_mfma_i32_16x16x32_i8 v[56:59], a[48:49], a[8:9], v[56:59]// 000000003848: D3D70038 1CE21130
	s_add_u32 s60, 0x180, s80                                  // 000000003850: 803C50FF 00000180
	s_cmp_lt_u32 s60, s81                                      // 000000003858: BF0A513C
	s_cselect_b32 s57, s57, 0                                  // 00000000385C: 85398039
	v_mfma_i32_16x16x32_i8 v[56:59], a[50:51], a[10:11], v[56:59]// 000000003860: D3D70038 1CE21532
	buffer_load_dwordx4 a[20:23], v36, s[84:87], 0 offen offset:1024// 000000003868: E05C1400 80951424
	s_add_u32 s60, 0x100, s80                                  // 000000003870: 803C50FF 00000100
	s_cmp_lt_u32 s60, s81                                      // 000000003878: BF0A513C
	s_cselect_b32 s58, s58, 0                                  // 00000000387C: 853A803A
	v_mfma_i32_16x16x32_i8 v[56:59], a[52:53], a[12:13], v[56:59]// 000000003880: D3D70038 1CE21934
	s_add_u32 s60, 0x100, s80                                  // 000000003888: 803C50FF 00000100
	s_cmp_lt_u32 s60, s81                                      // 000000003890: BF0A513C
	s_cselect_b32 s83, s83, 0                                  // 000000003894: 85538053
	v_mfma_i32_16x16x32_i8 v[56:59], a[54:55], a[14:15], v[56:59]// 000000003898: D3D70038 1CE21D36
	s_add_u32 s24, s58, s24                                    // 0000000038A0: 8018183A
	s_addc_u32 s25, 0, s25                                     // 0000000038A4: 82191980
	v_mfma_i32_16x16x32_i8 v[60:63], a[56:57], a[8:9], v[60:63]// 0000000038A8: D3D7003C 1CF21138
	s_add_u32 s20, s57, s20                                    // 0000000038B0: 80141439
	s_addc_u32 s21, 0, s21                                     // 0000000038B4: 82151580
	v_mfma_i32_16x16x32_i8 v[60:63], a[58:59], a[10:11], v[60:63]// 0000000038B8: D3D7003C 1CF2153A
	buffer_load_dwordx4 a[24:27], v37, s[84:87], 0 offen       // 0000000038C0: E05C1000 80951825
	v_mfma_i32_16x16x32_i8 v[60:63], a[60:61], a[12:13], v[60:63]// 0000000038C8: D3D7003C 1CF2193C
	v_mfma_i32_16x16x32_i8 v[60:63], a[62:63], a[14:15], v[60:63]// 0000000038D0: D3D7003C 1CF21D3E
	buffer_load_dwordx4 a[28:31], v37, s[84:87], 0 offen offset:1024// 0000000038D8: E05C1400 80951C25
	buffer_load_dwordx4 a[32:35], v38, s[84:87], 0 offen       // 0000000038E0: E05C1000 80952026
	buffer_load_dwordx4 a[36:39], v38, s[84:87], 0 offen offset:1024// 0000000038E8: E05C1400 80952426
	s_add_u32 s84, s83, s84                                    // 0000000038F0: 80545453
	s_addc_u32 s85, 0, s85                                     // 0000000038F4: 82555580
	s_addk_i32 s80, 0x80                                       // 0000000038F8: B7500080
	s_cmp_lt_i32 s80, s81                                      // 0000000038FC: BF045150
	s_cbranch_scc0 label_0418                                  // 000000003900: BF8400D7
	s_waitcnt vmcnt(8) lgkmcnt(0)                              // 000000003904: BF8C0078
	v_mfma_i32_16x16x32_i8 v[40:43], a[64:65], a[0:1], v[40:43]// 000000003908: D3D70028 1CA20140
	v_mfma_i32_16x16x32_i8 v[40:43], a[66:67], a[2:3], v[40:43]// 000000003910: D3D70028 1CA20542
	buffer_load_dwordx4 a[40:43], v36, s[24:27], 0 offen       // 000000003918: E05C1000 80862824
	v_mfma_i32_16x16x32_i8 v[40:43], a[68:69], a[4:5], v[40:43]// 000000003920: D3D70028 1CA20944
	v_mfma_i32_16x16x32_i8 v[40:43], a[70:71], a[6:7], v[40:43]// 000000003928: D3D70028 1CA20D46
	v_mfma_i32_16x16x32_i8 v[44:47], a[72:73], a[0:1], v[44:47]// 000000003930: D3D7002C 1CB20148
	v_mfma_i32_16x16x32_i8 v[44:47], a[74:75], a[2:3], v[44:47]// 000000003938: D3D7002C 1CB2054A
	buffer_load_dwordx4 a[44:47], v36, s[24:27], 0 offen offset:1024// 000000003940: E05C1400 80862C24
	v_mfma_i32_16x16x32_i8 v[44:47], a[76:77], a[4:5], v[44:47]// 000000003948: D3D7002C 1CB2094C
	v_mfma_i32_16x16x32_i8 v[44:47], a[78:79], a[6:7], v[44:47]// 000000003950: D3D7002C 1CB20D4E
	v_mfma_i32_16x16x32_i8 v[48:51], a[80:81], a[0:1], v[48:51]// 000000003958: D3D70030 1CC20150
	v_mfma_i32_16x16x32_i8 v[48:51], a[82:83], a[2:3], v[48:51]// 000000003960: D3D70030 1CC20552
	buffer_load_dwordx4 a[48:51], v37, s[24:27], 0 offen       // 000000003968: E05C1000 80863025
	v_mfma_i32_16x16x32_i8 v[48:51], a[84:85], a[4:5], v[48:51]// 000000003970: D3D70030 1CC20954
	v_mfma_i32_16x16x32_i8 v[48:51], a[86:87], a[6:7], v[48:51]// 000000003978: D3D70030 1CC20D56
	buffer_load_dwordx4 a[52:55], v37, s[24:27], 0 offen offset:1024// 000000003980: E05C1400 80863425
	buffer_load_dwordx4 a[56:59], v38, s[24:27], 0 offen       // 000000003988: E05C1000 80863826
	buffer_load_dwordx4 a[60:63], v38, s[24:27], 0 offen offset:1024// 000000003990: E05C1400 80863C26
	buffer_load_dword v34, s[20:23], 0 offen lds               // 000000003998: E0511000 80050022
	s_add_u32 m0, 0x100, s48                                   // 0000000039A0: 807C30FF 00000100
	buffer_load_dword v35, s[20:23], 0 offen lds               // 0000000039A8: E0511000 80050023
	s_add_u32 m0, 0, s49                                       // 0000000039B0: 807C3180
	s_waitcnt vmcnt(8)                                         // 0000000039B4: BF8C0F78
	s_barrier                                                  // 0000000039B8: BF8A0000
	v_mfma_i32_16x16x32_i8 v[52:55], a[16:17], a[0:1], v[52:55]// 0000000039BC: D3D70034 1CD20110
	v_mfma_i32_16x16x32_i8 v[52:55], a[18:19], a[2:3], v[52:55]// 0000000039C4: D3D70034 1CD20512
	buffer_load_dwordx4 a[64:67], v36, s[84:87], 0 offen       // 0000000039CC: E05C1000 80954024
	v_mfma_i32_16x16x32_i8 v[52:55], a[20:21], a[4:5], v[52:55]// 0000000039D4: D3D70034 1CD20914
	v_mfma_i32_16x16x32_i8 v[52:55], a[22:23], a[6:7], v[52:55]// 0000000039DC: D3D70034 1CD20D16
	ds_read_b128 a[8:11], v2 offset:4352                       // 0000000039E4: DBFE1100 08000002
	ds_read_b128 a[12:15], v2 offset:4416                      // 0000000039EC: DBFE1140 0C000002
	v_mfma_i32_16x16x32_i8 v[56:59], a[24:25], a[0:1], v[56:59]// 0000000039F4: D3D70038 1CE20118
	s_add_u32 s60, 0x180, s80                                  // 0000000039FC: 803C50FF 00000180
	s_cmp_lt_u32 s60, s81                                      // 000000003A04: BF0A513C
	s_cselect_b32 s57, s57, 0                                  // 000000003A08: 85398039
	v_mfma_i32_16x16x32_i8 v[56:59], a[26:27], a[2:3], v[56:59]// 000000003A0C: D3D70038 1CE2051A
	buffer_load_dwordx4 a[68:71], v36, s[84:87], 0 offen offset:1024// 000000003A14: E05C1400 80954424
	s_add_u32 s60, 0x100, s80                                  // 000000003A1C: 803C50FF 00000100
	s_cmp_lt_u32 s60, s81                                      // 000000003A24: BF0A513C
	s_cselect_b32 s58, s58, 0                                  // 000000003A28: 853A803A
	v_mfma_i32_16x16x32_i8 v[56:59], a[28:29], a[4:5], v[56:59]// 000000003A2C: D3D70038 1CE2091C
	s_add_u32 s60, 0x100, s80                                  // 000000003A34: 803C50FF 00000100
	s_cmp_lt_u32 s60, s81                                      // 000000003A3C: BF0A513C
	s_cselect_b32 s83, s83, 0                                  // 000000003A40: 85538053
	v_mfma_i32_16x16x32_i8 v[56:59], a[30:31], a[6:7], v[56:59]// 000000003A44: D3D70038 1CE20D1E
	s_add_u32 s24, s58, s24                                    // 000000003A4C: 8018183A
	s_addc_u32 s25, 0, s25                                     // 000000003A50: 82191980
	v_mfma_i32_16x16x32_i8 v[60:63], a[32:33], a[0:1], v[60:63]// 000000003A54: D3D7003C 1CF20120
	s_add_u32 s20, s57, s20                                    // 000000003A5C: 80141439
	s_addc_u32 s21, 0, s21                                     // 000000003A60: 82151580
	v_mfma_i32_16x16x32_i8 v[60:63], a[34:35], a[2:3], v[60:63]// 000000003A64: D3D7003C 1CF20522
	buffer_load_dwordx4 a[72:75], v37, s[84:87], 0 offen       // 000000003A6C: E05C1000 80954825
	v_mfma_i32_16x16x32_i8 v[60:63], a[36:37], a[4:5], v[60:63]// 000000003A74: D3D7003C 1CF20924
	v_mfma_i32_16x16x32_i8 v[60:63], a[38:39], a[6:7], v[60:63]// 000000003A7C: D3D7003C 1CF20D26
	buffer_load_dwordx4 a[76:79], v37, s[84:87], 0 offen offset:1024// 000000003A84: E05C1400 80954C25
	buffer_load_dwordx4 a[80:83], v38, s[84:87], 0 offen       // 000000003A8C: E05C1000 80955026
	buffer_load_dwordx4 a[84:87], v38, s[84:87], 0 offen offset:1024// 000000003A94: E05C1400 80955426
	s_add_u32 s84, s83, s84                                    // 000000003A9C: 80545453
	s_addc_u32 s85, 0, s85                                     // 000000003AA0: 82555580
	s_addk_i32 s80, 0x80                                       // 000000003AA4: B7500080
	s_cmp_lt_i32 s80, s81                                      // 000000003AA8: BF045150
	s_cbranch_scc0 label_0418                                  // 000000003AAC: BF84006C
	s_waitcnt vmcnt(8) lgkmcnt(0)                              // 000000003AB0: BF8C0078
	v_mfma_i32_16x16x32_i8 v[40:43], a[40:41], a[8:9], v[40:43]// 000000003AB4: D3D70028 1CA21128
	v_mfma_i32_16x16x32_i8 v[40:43], a[42:43], a[10:11], v[40:43]// 000000003ABC: D3D70028 1CA2152A
	buffer_load_dwordx4 a[16:19], v36, s[24:27], 0 offen       // 000000003AC4: E05C1000 80861024
	v_mfma_i32_16x16x32_i8 v[40:43], a[44:45], a[12:13], v[40:43]// 000000003ACC: D3D70028 1CA2192C
	v_mfma_i32_16x16x32_i8 v[40:43], a[46:47], a[14:15], v[40:43]// 000000003AD4: D3D70028 1CA21D2E
	v_mfma_i32_16x16x32_i8 v[44:47], a[48:49], a[8:9], v[44:47]// 000000003ADC: D3D7002C 1CB21130
	v_mfma_i32_16x16x32_i8 v[44:47], a[50:51], a[10:11], v[44:47]// 000000003AE4: D3D7002C 1CB21532
	buffer_load_dwordx4 a[20:23], v36, s[24:27], 0 offen offset:1024// 000000003AEC: E05C1400 80861424
	v_mfma_i32_16x16x32_i8 v[44:47], a[52:53], a[12:13], v[44:47]// 000000003AF4: D3D7002C 1CB21934
	v_mfma_i32_16x16x32_i8 v[44:47], a[54:55], a[14:15], v[44:47]// 000000003AFC: D3D7002C 1CB21D36
	v_mfma_i32_16x16x32_i8 v[48:51], a[56:57], a[8:9], v[48:51]// 000000003B04: D3D70030 1CC21138
	v_mfma_i32_16x16x32_i8 v[48:51], a[58:59], a[10:11], v[48:51]// 000000003B0C: D3D70030 1CC2153A
	buffer_load_dwordx4 a[24:27], v37, s[24:27], 0 offen       // 000000003B14: E05C1000 80861825
	v_mfma_i32_16x16x32_i8 v[48:51], a[60:61], a[12:13], v[48:51]// 000000003B1C: D3D70030 1CC2193C
	v_mfma_i32_16x16x32_i8 v[48:51], a[62:63], a[14:15], v[48:51]// 000000003B24: D3D70030 1CC21D3E
	buffer_load_dwordx4 a[28:31], v37, s[24:27], 0 offen offset:1024// 000000003B2C: E05C1400 80861C25
	buffer_load_dwordx4 a[32:35], v38, s[24:27], 0 offen       // 000000003B34: E05C1000 80862026
	buffer_load_dwordx4 a[36:39], v38, s[24:27], 0 offen offset:1024// 000000003B3C: E05C1400 80862426
	buffer_load_dword v34, s[20:23], 0 offen lds               // 000000003B44: E0511000 80050022
	s_add_u32 m0, 0x100, s49                                   // 000000003B4C: 807C31FF 00000100
	buffer_load_dword v35, s[20:23], 0 offen lds               // 000000003B54: E0511000 80050023
	s_add_u32 m0, 0, s50                                       // 000000003B5C: 807C3280
	s_waitcnt vmcnt(8)                                         // 000000003B60: BF8C0F78
	s_barrier                                                  // 000000003B64: BF8A0000
	v_mfma_i32_16x16x32_i8 v[52:55], a[64:65], a[8:9], v[52:55]// 000000003B68: D3D70034 1CD21140
	v_mfma_i32_16x16x32_i8 v[52:55], a[66:67], a[10:11], v[52:55]// 000000003B70: D3D70034 1CD21542
	buffer_load_dwordx4 a[40:43], v36, s[84:87], 0 offen       // 000000003B78: E05C1000 80952824
	v_mfma_i32_16x16x32_i8 v[52:55], a[68:69], a[12:13], v[52:55]// 000000003B80: D3D70034 1CD21944
	v_mfma_i32_16x16x32_i8 v[52:55], a[70:71], a[14:15], v[52:55]// 000000003B88: D3D70034 1CD21D46
	ds_read_b128 a[0:3], v2                                    // 000000003B90: DBFE0000 00000002
	ds_read_b128 a[4:7], v2 offset:64                          // 000000003B98: DBFE0040 04000002
	v_mfma_i32_16x16x32_i8 v[56:59], a[72:73], a[8:9], v[56:59]// 000000003BA0: D3D70038 1CE21148
	s_add_u32 s60, 0x180, s80                                  // 000000003BA8: 803C50FF 00000180
	s_cmp_lt_u32 s60, s81                                      // 000000003BB0: BF0A513C
	s_cselect_b32 s57, s57, 0                                  // 000000003BB4: 85398039
	v_mfma_i32_16x16x32_i8 v[56:59], a[74:75], a[10:11], v[56:59]// 000000003BB8: D3D70038 1CE2154A
	buffer_load_dwordx4 a[44:47], v36, s[84:87], 0 offen offset:1024// 000000003BC0: E05C1400 80952C24
	s_add_u32 s60, 0x100, s80                                  // 000000003BC8: 803C50FF 00000100
	s_cmp_lt_u32 s60, s81                                      // 000000003BD0: BF0A513C
	s_cselect_b32 s58, s58, 0                                  // 000000003BD4: 853A803A
	v_mfma_i32_16x16x32_i8 v[56:59], a[76:77], a[12:13], v[56:59]// 000000003BD8: D3D70038 1CE2194C
	s_add_u32 s60, 0x100, s80                                  // 000000003BE0: 803C50FF 00000100
	s_cmp_lt_u32 s60, s81                                      // 000000003BE8: BF0A513C
	s_cselect_b32 s83, s83, 0                                  // 000000003BEC: 85538053
	v_mfma_i32_16x16x32_i8 v[56:59], a[78:79], a[14:15], v[56:59]// 000000003BF0: D3D70038 1CE21D4E
	s_add_u32 s24, s58, s24                                    // 000000003BF8: 8018183A
	s_addc_u32 s25, 0, s25                                     // 000000003BFC: 82191980
	v_mfma_i32_16x16x32_i8 v[60:63], a[80:81], a[8:9], v[60:63]// 000000003C00: D3D7003C 1CF21150
	s_add_u32 s20, s57, s20                                    // 000000003C08: 80141439
	s_addc_u32 s21, 0, s21                                     // 000000003C0C: 82151580
	v_mfma_i32_16x16x32_i8 v[60:63], a[82:83], a[10:11], v[60:63]// 000000003C10: D3D7003C 1CF21552
	buffer_load_dwordx4 a[48:51], v37, s[84:87], 0 offen       // 000000003C18: E05C1000 80953025
	v_mfma_i32_16x16x32_i8 v[60:63], a[84:85], a[12:13], v[60:63]// 000000003C20: D3D7003C 1CF21954
	v_mfma_i32_16x16x32_i8 v[60:63], a[86:87], a[14:15], v[60:63]// 000000003C28: D3D7003C 1CF21D56
	buffer_load_dwordx4 a[52:55], v37, s[84:87], 0 offen offset:1024// 000000003C30: E05C1400 80953425
	buffer_load_dwordx4 a[56:59], v38, s[84:87], 0 offen       // 000000003C38: E05C1000 80953826
	buffer_load_dwordx4 a[60:63], v38, s[84:87], 0 offen offset:1024// 000000003C40: E05C1400 80953C26
	s_add_u32 s84, s83, s84                                    // 000000003C48: 80545453
	s_addc_u32 s85, 0, s85                                     // 000000003C4C: 82555580
	s_addk_i32 s80, 0x80                                       // 000000003C50: B7500080
	s_cmp_lt_i32 s80, s81                                      // 000000003C54: BF045150
	s_cbranch_scc0 label_0418                                  // 000000003C58: BF840001
	s_branch label_0195                                        // 000000003C5C: BF82FD7D

0000000000003c60 <label_0418>:
	v_cvt_f32_i32_e32 v40, v40                                 // 000000003C60: 7E500B28
	v_cvt_f32_i32_e32 v41, v41                                 // 000000003C64: 7E520B29
	v_cvt_f32_i32_e32 v42, v42                                 // 000000003C68: 7E540B2A
	v_cvt_f32_i32_e32 v43, v43                                 // 000000003C6C: 7E560B2B
	v_mul_f32_dpp v40, v24, v40 row_newbcast:0 row_mask:0xf bank_mask:0xf// 000000003C70: 0A5050FA FF015018
	v_mul_f32_dpp v41, v24, v41 row_newbcast:1 row_mask:0xf bank_mask:0xf// 000000003C78: 0A5252FA FF015118
	v_mul_f32_dpp v42, v24, v42 row_newbcast:2 row_mask:0xf bank_mask:0xf// 000000003C80: 0A5454FA FF015218
	v_mul_f32_dpp v43, v24, v43 row_newbcast:3 row_mask:0xf bank_mask:0xf// 000000003C88: 0A5656FA FF015318
	v_cvt_f32_i32_e32 v44, v44                                 // 000000003C90: 7E580B2C
	v_cvt_f32_i32_e32 v45, v45                                 // 000000003C94: 7E5A0B2D
	v_cvt_f32_i32_e32 v46, v46                                 // 000000003C98: 7E5C0B2E
	v_cvt_f32_i32_e32 v47, v47                                 // 000000003C9C: 7E5E0B2F
	v_mul_f32_dpp v44, v24, v44 row_newbcast:4 row_mask:0xf bank_mask:0xf// 000000003CA0: 0A5858FA FF015418
	v_mul_f32_dpp v45, v24, v45 row_newbcast:5 row_mask:0xf bank_mask:0xf// 000000003CA8: 0A5A5AFA FF015518
	v_mul_f32_dpp v46, v24, v46 row_newbcast:6 row_mask:0xf bank_mask:0xf// 000000003CB0: 0A5C5CFA FF015618
	v_mul_f32_dpp v47, v24, v47 row_newbcast:7 row_mask:0xf bank_mask:0xf// 000000003CB8: 0A5E5EFA FF015718
	v_cvt_f32_i32_e32 v48, v48                                 // 000000003CC0: 7E600B30
	v_cvt_f32_i32_e32 v49, v49                                 // 000000003CC4: 7E620B31
	v_cvt_f32_i32_e32 v50, v50                                 // 000000003CC8: 7E640B32
	v_cvt_f32_i32_e32 v51, v51                                 // 000000003CCC: 7E660B33
	v_mul_f32_dpp v48, v24, v48 row_newbcast:8 row_mask:0xf bank_mask:0xf// 000000003CD0: 0A6060FA FF015818
	v_mul_f32_dpp v49, v24, v49 row_newbcast:9 row_mask:0xf bank_mask:0xf// 000000003CD8: 0A6262FA FF015918
	v_mul_f32_dpp v50, v24, v50 row_newbcast:10 row_mask:0xf bank_mask:0xf// 000000003CE0: 0A6464FA FF015A18
	v_mul_f32_dpp v51, v24, v51 row_newbcast:11 row_mask:0xf bank_mask:0xf// 000000003CE8: 0A6666FA FF015B18
	v_cvt_f32_i32_e32 v52, v52                                 // 000000003CF0: 7E680B34
	v_cvt_f32_i32_e32 v53, v53                                 // 000000003CF4: 7E6A0B35
	v_cvt_f32_i32_e32 v54, v54                                 // 000000003CF8: 7E6C0B36
	v_cvt_f32_i32_e32 v55, v55                                 // 000000003CFC: 7E6E0B37
	v_mul_f32_dpp v52, v27, v52 row_newbcast:0 row_mask:0xf bank_mask:0xf// 000000003D00: 0A6868FA FF01501B
	v_mul_f32_dpp v53, v27, v53 row_newbcast:1 row_mask:0xf bank_mask:0xf// 000000003D08: 0A6A6AFA FF01511B
	v_mul_f32_dpp v54, v27, v54 row_newbcast:2 row_mask:0xf bank_mask:0xf// 000000003D10: 0A6C6CFA FF01521B
	v_mul_f32_dpp v55, v27, v55 row_newbcast:3 row_mask:0xf bank_mask:0xf// 000000003D18: 0A6E6EFA FF01531B
	v_cvt_f32_i32_e32 v56, v56                                 // 000000003D20: 7E700B38
	v_cvt_f32_i32_e32 v57, v57                                 // 000000003D24: 7E720B39
	v_cvt_f32_i32_e32 v58, v58                                 // 000000003D28: 7E740B3A
	v_cvt_f32_i32_e32 v59, v59                                 // 000000003D2C: 7E760B3B
	v_mul_f32_dpp v56, v27, v56 row_newbcast:4 row_mask:0xf bank_mask:0xf// 000000003D30: 0A7070FA FF01541B
	v_mul_f32_dpp v57, v27, v57 row_newbcast:5 row_mask:0xf bank_mask:0xf// 000000003D38: 0A7272FA FF01551B
	v_mul_f32_dpp v58, v27, v58 row_newbcast:6 row_mask:0xf bank_mask:0xf// 000000003D40: 0A7474FA FF01561B
	v_mul_f32_dpp v59, v27, v59 row_newbcast:7 row_mask:0xf bank_mask:0xf// 000000003D48: 0A7676FA FF01571B
	v_cvt_f32_i32_e32 v60, v60                                 // 000000003D50: 7E780B3C
	v_cvt_f32_i32_e32 v61, v61                                 // 000000003D54: 7E7A0B3D
	v_cvt_f32_i32_e32 v62, v62                                 // 000000003D58: 7E7C0B3E
	v_cvt_f32_i32_e32 v63, v63                                 // 000000003D5C: 7E7E0B3F
	v_mul_f32_dpp v60, v27, v60 row_newbcast:8 row_mask:0xf bank_mask:0xf// 000000003D60: 0A7878FA FF01581B
	v_mul_f32_dpp v61, v27, v61 row_newbcast:9 row_mask:0xf bank_mask:0xf// 000000003D68: 0A7A7AFA FF01591B
	v_mul_f32_dpp v62, v27, v62 row_newbcast:10 row_mask:0xf bank_mask:0xf// 000000003D70: 0A7C7CFA FF015A1B
	v_mul_f32_dpp v63, v27, v63 row_newbcast:11 row_mask:0xf bank_mask:0xf// 000000003D78: 0A7E7EFA FF015B1B
	v_mov_b32_e32 v4, v31                                      // 000000003D80: 7E08031F
	v_mov_b32_e32 v5, v4                                       // 000000003D84: 7E0A0304
	v_pk_mul_f32 v[40:41], v[4:5], v[40:41]                    // 000000003D88: D3B14028 18025104
	v_pk_mul_f32 v[52:53], v[4:5], v[52:53]                    // 000000003D90: D3B14034 18026904
	v_pk_mul_f32 v[42:43], v[4:5], v[42:43]                    // 000000003D98: D3B1402A 18025504
	v_pk_mul_f32 v[54:55], v[4:5], v[54:55]                    // 000000003DA0: D3B14036 18026D04
	v_pk_mul_f32 v[44:45], v[4:5], v[44:45]                    // 000000003DA8: D3B1402C 18025904
	v_pk_mul_f32 v[56:57], v[4:5], v[56:57]                    // 000000003DB0: D3B14038 18027104
	v_pk_mul_f32 v[46:47], v[4:5], v[46:47]                    // 000000003DB8: D3B1402E 18025D04
	v_pk_mul_f32 v[58:59], v[4:5], v[58:59]                    // 000000003DC0: D3B1403A 18027504
	v_pk_mul_f32 v[48:49], v[4:5], v[48:49]                    // 000000003DC8: D3B14030 18026104
	v_pk_mul_f32 v[60:61], v[4:5], v[60:61]                    // 000000003DD0: D3B1403C 18027904
	v_pk_mul_f32 v[50:51], v[4:5], v[50:51]                    // 000000003DD8: D3B14032 18026504
	v_pk_mul_f32 v[62:63], v[4:5], v[62:63]                    // 000000003DE0: D3B1403E 18027D04
	s_cmp_eq_u32 s88, 0                                        // 000000003DE8: BF068058
	s_cbranch_scc0 label_0633                                  // 000000003DEC: BF8401B7
	s_cmp_eq_u32 s89, 0                                        // 000000003DF0: BF068059
	s_cbranch_scc1 label_04FB                                  // 000000003DF4: BF85007D
	v_mov_b32_e32 v8, v1                                       // 000000003DF8: 7E100301
	v_mov_b32_e32 v9, v1                                       // 000000003DFC: 7E120301
	s_mov_b32 s60, s6                                          // 000000003E00: BEBC0006
	s_mov_b32 s61, s6                                          // 000000003E04: BEBD0006
	v_pk_mul_f32 v[4:5], v[40:41], v[40:41]                    // 000000003E08: D3B14004 18025128
	v_pk_mul_f32 v[6:7], v[42:43], v[42:43]                    // 000000003E10: D3B14006 1802552A
	v_pk_fma_f32 v[4:5], v[4:5], s[78:79], v[8:9]              // 000000003E18: D3B04004 1C209D04
	v_pk_fma_f32 v[6:7], v[6:7], s[78:79], v[8:9]              // 000000003E20: D3B04006 1C209D06
	v_pk_mul_f32 v[4:5], v[4:5], v[40:41]                      // 000000003E28: D3B14004 18025104
	v_pk_mul_f32 v[6:7], v[6:7], v[42:43]                      // 000000003E30: D3B14006 18025506
	v_pk_mul_f32 v[4:5], v[4:5], s[60:61]                      // 000000003E38: D3B14004 18007904
	v_pk_mul_f32 v[6:7], v[6:7], s[60:61]                      // 000000003E40: D3B14006 18007906
	v_exp_f32_e32 v4, v4                                       // 000000003E48: 7E084104
	v_exp_f32_e32 v5, v5                                       // 000000003E4C: 7E0A4105
	v_exp_f32_e32 v6, v6                                       // 000000003E50: 7E0C4106
	v_exp_f32_e32 v7, v7                                       // 000000003E54: 7E0E4107
	v_add_f32_e64 v4, v4, 1.0                                  // 000000003E58: D1010004 0001E504
	v_add_f32_e64 v5, v5, 1.0                                  // 000000003E60: D1010005 0001E505
	v_add_f32_e64 v6, v6, 1.0                                  // 000000003E68: D1010006 0001E506
	v_add_f32_e64 v7, v7, 1.0                                  // 000000003E70: D1010007 0001E507
	v_rcp_f32_e32 v4, v4                                       // 000000003E78: 7E084504
	v_rcp_f32_e32 v5, v5                                       // 000000003E7C: 7E0A4505
	v_rcp_f32_e32 v6, v6                                       // 000000003E80: 7E0C4506
	v_rcp_f32_e32 v7, v7                                       // 000000003E84: 7E0E4507
	v_mul_f32_e32 v40, v40, v4                                 // 000000003E88: 0A500928
	v_mul_f32_e32 v41, v41, v5                                 // 000000003E8C: 0A520B29
	v_mul_f32_e32 v42, v42, v6                                 // 000000003E90: 0A540D2A
	v_mul_f32_e32 v43, v43, v7                                 // 000000003E94: 0A560F2B
	v_mul_f32_e32 v40, v40, v52                                // 000000003E98: 0A506928
	v_mul_f32_e32 v41, v41, v53                                // 000000003E9C: 0A526B29
	v_mul_f32_e32 v42, v42, v54                                // 000000003EA0: 0A546D2A
	v_mul_f32_e32 v43, v43, v55                                // 000000003EA4: 0A566F2B
	v_pk_mul_f32 v[4:5], v[44:45], v[44:45]                    // 000000003EA8: D3B14004 1802592C
	v_pk_mul_f32 v[6:7], v[46:47], v[46:47]                    // 000000003EB0: D3B14006 18025D2E
	v_pk_fma_f32 v[4:5], v[4:5], s[78:79], v[8:9]              // 000000003EB8: D3B04004 1C209D04
	v_pk_fma_f32 v[6:7], v[6:7], s[78:79], v[8:9]              // 000000003EC0: D3B04006 1C209D06
	v_pk_mul_f32 v[4:5], v[4:5], v[44:45]                      // 000000003EC8: D3B14004 18025904
	v_pk_mul_f32 v[6:7], v[6:7], v[46:47]                      // 000000003ED0: D3B14006 18025D06
	v_pk_mul_f32 v[4:5], v[4:5], s[60:61]                      // 000000003ED8: D3B14004 18007904
	v_pk_mul_f32 v[6:7], v[6:7], s[60:61]                      // 000000003EE0: D3B14006 18007906
	v_exp_f32_e32 v4, v4                                       // 000000003EE8: 7E084104
	v_exp_f32_e32 v5, v5                                       // 000000003EEC: 7E0A4105
	v_exp_f32_e32 v6, v6                                       // 000000003EF0: 7E0C4106
	v_exp_f32_e32 v7, v7                                       // 000000003EF4: 7E0E4107
	v_add_f32_e64 v4, v4, 1.0                                  // 000000003EF8: D1010004 0001E504
	v_add_f32_e64 v5, v5, 1.0                                  // 000000003F00: D1010005 0001E505
	v_add_f32_e64 v6, v6, 1.0                                  // 000000003F08: D1010006 0001E506
	v_add_f32_e64 v7, v7, 1.0                                  // 000000003F10: D1010007 0001E507
	v_rcp_f32_e32 v4, v4                                       // 000000003F18: 7E084504
	v_rcp_f32_e32 v5, v5                                       // 000000003F1C: 7E0A4505
	v_rcp_f32_e32 v6, v6                                       // 000000003F20: 7E0C4506
	v_rcp_f32_e32 v7, v7                                       // 000000003F24: 7E0E4507
	v_mul_f32_e32 v44, v44, v4                                 // 000000003F28: 0A58092C
	v_mul_f32_e32 v45, v45, v5                                 // 000000003F2C: 0A5A0B2D
	v_mul_f32_e32 v46, v46, v6                                 // 000000003F30: 0A5C0D2E
	v_mul_f32_e32 v47, v47, v7                                 // 000000003F34: 0A5E0F2F
	v_mul_f32_e32 v44, v44, v56                                // 000000003F38: 0A58712C
	v_mul_f32_e32 v45, v45, v57                                // 000000003F3C: 0A5A732D
	v_mul_f32_e32 v46, v46, v58                                // 000000003F40: 0A5C752E
	v_mul_f32_e32 v47, v47, v59                                // 000000003F44: 0A5E772F
	v_pk_mul_f32 v[4:5], v[48:49], v[48:49]                    // 000000003F48: D3B14004 18026130
	v_pk_mul_f32 v[6:7], v[50:51], v[50:51]                    // 000000003F50: D3B14006 18026532
	v_pk_fma_f32 v[4:5], v[4:5], s[78:79], v[8:9]              // 000000003F58: D3B04004 1C209D04
	v_pk_fma_f32 v[6:7], v[6:7], s[78:79], v[8:9]              // 000000003F60: D3B04006 1C209D06
	v_pk_mul_f32 v[4:5], v[4:5], v[48:49]                      // 000000003F68: D3B14004 18026104
	v_pk_mul_f32 v[6:7], v[6:7], v[50:51]                      // 000000003F70: D3B14006 18026506
	v_pk_mul_f32 v[4:5], v[4:5], s[60:61]                      // 000000003F78: D3B14004 18007904
	v_pk_mul_f32 v[6:7], v[6:7], s[60:61]                      // 000000003F80: D3B14006 18007906
	v_exp_f32_e32 v4, v4                                       // 000000003F88: 7E084104
	v_exp_f32_e32 v5, v5                                       // 000000003F8C: 7E0A4105
	v_exp_f32_e32 v6, v6                                       // 000000003F90: 7E0C4106
	v_exp_f32_e32 v7, v7                                       // 000000003F94: 7E0E4107
	v_add_f32_e64 v4, v4, 1.0                                  // 000000003F98: D1010004 0001E504
	v_add_f32_e64 v5, v5, 1.0                                  // 000000003FA0: D1010005 0001E505
	v_add_f32_e64 v6, v6, 1.0                                  // 000000003FA8: D1010006 0001E506
	v_add_f32_e64 v7, v7, 1.0                                  // 000000003FB0: D1010007 0001E507
	v_rcp_f32_e32 v4, v4                                       // 000000003FB8: 7E084504
	v_rcp_f32_e32 v5, v5                                       // 000000003FBC: 7E0A4505
	v_rcp_f32_e32 v6, v6                                       // 000000003FC0: 7E0C4506
	v_rcp_f32_e32 v7, v7                                       // 000000003FC4: 7E0E4507
	v_mul_f32_e32 v48, v48, v4                                 // 000000003FC8: 0A600930
	v_mul_f32_e32 v49, v49, v5                                 // 000000003FCC: 0A620B31
	v_mul_f32_e32 v50, v50, v6                                 // 000000003FD0: 0A640D32
	v_mul_f32_e32 v51, v51, v7                                 // 000000003FD4: 0A660F33
	v_mul_f32_e32 v48, v48, v60                                // 000000003FD8: 0A607930
	v_mul_f32_e32 v49, v49, v61                                // 000000003FDC: 0A627B31
	v_mul_f32_e32 v50, v50, v62                                // 000000003FE0: 0A647D32
	v_mul_f32_e32 v51, v51, v63                                // 000000003FE4: 0A667F33
	s_branch label_055B                                        // 000000003FE8: BF820060

0000000000003fec <label_04FB>:
	v_mul_f32_e64 v4, -v40, s6                                 // 000000003FEC: D1050004 20000D28
	v_mul_f32_e64 v5, -v41, s6                                 // 000000003FF4: D1050005 20000D29
	v_mul_f32_e64 v6, -v42, s6                                 // 000000003FFC: D1050006 20000D2A
	v_mul_f32_e64 v7, -v43, s6                                 // 000000004004: D1050007 20000D2B
	v_exp_f32_e32 v4, v4                                       // 00000000400C: 7E084104
	v_exp_f32_e32 v5, v5                                       // 000000004010: 7E0A4105
	v_exp_f32_e32 v6, v6                                       // 000000004014: 7E0C4106
	v_exp_f32_e32 v7, v7                                       // 000000004018: 7E0E4107
	v_add_f32_e64 v4, v4, 1.0                                  // 00000000401C: D1010004 0001E504
	v_add_f32_e64 v5, v5, 1.0                                  // 000000004024: D1010005 0001E505
	v_add_f32_e64 v6, v6, 1.0                                  // 00000000402C: D1010006 0001E506
	v_add_f32_e64 v7, v7, 1.0                                  // 000000004034: D1010007 0001E507
	v_rcp_f32_e32 v4, v4                                       // 00000000403C: 7E084504
	v_rcp_f32_e32 v5, v5                                       // 000000004040: 7E0A4505
	v_rcp_f32_e32 v6, v6                                       // 000000004044: 7E0C4506
	v_rcp_f32_e32 v7, v7                                       // 000000004048: 7E0E4507
	v_mul_f32_e32 v40, v40, v4                                 // 00000000404C: 0A500928
	v_mul_f32_e32 v41, v41, v5                                 // 000000004050: 0A520B29
	v_mul_f32_e32 v42, v42, v6                                 // 000000004054: 0A540D2A
	v_mul_f32_e32 v43, v43, v7                                 // 000000004058: 0A560F2B
	v_mul_f32_e32 v40, v40, v52                                // 00000000405C: 0A506928
	v_mul_f32_e32 v41, v41, v53                                // 000000004060: 0A526B29
	v_mul_f32_e32 v42, v42, v54                                // 000000004064: 0A546D2A
	v_mul_f32_e32 v43, v43, v55                                // 000000004068: 0A566F2B
	v_mul_f32_e64 v4, -v44, s6                                 // 00000000406C: D1050004 20000D2C
	v_mul_f32_e64 v5, -v45, s6                                 // 000000004074: D1050005 20000D2D
	v_mul_f32_e64 v6, -v46, s6                                 // 00000000407C: D1050006 20000D2E
	v_mul_f32_e64 v7, -v47, s6                                 // 000000004084: D1050007 20000D2F
	v_exp_f32_e32 v4, v4                                       // 00000000408C: 7E084104
	v_exp_f32_e32 v5, v5                                       // 000000004090: 7E0A4105
	v_exp_f32_e32 v6, v6                                       // 000000004094: 7E0C4106
	v_exp_f32_e32 v7, v7                                       // 000000004098: 7E0E4107
	v_add_f32_e64 v4, v4, 1.0                                  // 00000000409C: D1010004 0001E504
	v_add_f32_e64 v5, v5, 1.0                                  // 0000000040A4: D1010005 0001E505
	v_add_f32_e64 v6, v6, 1.0                                  // 0000000040AC: D1010006 0001E506
	v_add_f32_e64 v7, v7, 1.0                                  // 0000000040B4: D1010007 0001E507
	v_rcp_f32_e32 v4, v4                                       // 0000000040BC: 7E084504
	v_rcp_f32_e32 v5, v5                                       // 0000000040C0: 7E0A4505
	v_rcp_f32_e32 v6, v6                                       // 0000000040C4: 7E0C4506
	v_rcp_f32_e32 v7, v7                                       // 0000000040C8: 7E0E4507
	v_mul_f32_e32 v44, v44, v4                                 // 0000000040CC: 0A58092C
	v_mul_f32_e32 v45, v45, v5                                 // 0000000040D0: 0A5A0B2D
	v_mul_f32_e32 v46, v46, v6                                 // 0000000040D4: 0A5C0D2E
	v_mul_f32_e32 v47, v47, v7                                 // 0000000040D8: 0A5E0F2F
	v_mul_f32_e32 v44, v44, v56                                // 0000000040DC: 0A58712C
	v_mul_f32_e32 v45, v45, v57                                // 0000000040E0: 0A5A732D
	v_mul_f32_e32 v46, v46, v58                                // 0000000040E4: 0A5C752E
	v_mul_f32_e32 v47, v47, v59                                // 0000000040E8: 0A5E772F
	v_mul_f32_e64 v4, -v48, s6                                 // 0000000040EC: D1050004 20000D30
	v_mul_f32_e64 v5, -v49, s6                                 // 0000000040F4: D1050005 20000D31
	v_mul_f32_e64 v6, -v50, s6                                 // 0000000040FC: D1050006 20000D32
	v_mul_f32_e64 v7, -v51, s6                                 // 000000004104: D1050007 20000D33
	v_exp_f32_e32 v4, v4                                       // 00000000410C: 7E084104
	v_exp_f32_e32 v5, v5                                       // 000000004110: 7E0A4105
	v_exp_f32_e32 v6, v6                                       // 000000004114: 7E0C4106
	v_exp_f32_e32 v7, v7                                       // 000000004118: 7E0E4107
	v_add_f32_e64 v4, v4, 1.0                                  // 00000000411C: D1010004 0001E504
	v_add_f32_e64 v5, v5, 1.0                                  // 000000004124: D1010005 0001E505
	v_add_f32_e64 v6, v6, 1.0                                  // 00000000412C: D1010006 0001E506
	v_add_f32_e64 v7, v7, 1.0                                  // 000000004134: D1010007 0001E507
	v_rcp_f32_e32 v4, v4                                       // 00000000413C: 7E084504
	v_rcp_f32_e32 v5, v5                                       // 000000004140: 7E0A4505
	v_rcp_f32_e32 v6, v6                                       // 000000004144: 7E0C4506
	v_rcp_f32_e32 v7, v7                                       // 000000004148: 7E0E4507
	v_mul_f32_e32 v48, v48, v4                                 // 00000000414C: 0A600930
	v_mul_f32_e32 v49, v49, v5                                 // 000000004150: 0A620B31
	v_mul_f32_e32 v50, v50, v6                                 // 000000004154: 0A640D32
	v_mul_f32_e32 v51, v51, v7                                 // 000000004158: 0A660F33
	v_mul_f32_e32 v48, v48, v60                                // 00000000415C: 0A607930
	v_mul_f32_e32 v49, v49, v61                                // 000000004160: 0A627B31
	v_mul_f32_e32 v50, v50, v62                                // 000000004164: 0A647D32
	v_mul_f32_e32 v51, v51, v63                                // 000000004168: 0A667F33

000000000000416c <label_055B>:
	v_cmp_u_f32_e64 s[46:47], v40, v40                         // 00000000416C: D048002E 00025128
	v_add3_u32 v16, v40, v19, 1                                // 000000004174: D1FF0010 02062728
	v_cndmask_b32_e64 v4, v16, v18, s[46:47]                   // 00000000417C: D1000004 00BA2510
	v_cmp_u_f32_e64 s[46:47], v41, v41                         // 000000004184: D048002E 00025329
	v_add3_u32 v16, v41, v19, 1                                // 00000000418C: D1FF0010 02062729
	v_cndmask_b32_e64 v5, v16, v18, s[46:47]                   // 000000004194: D1000005 00BA2510
	v_perm_b32 v40, v5, v4, s52                                // 00000000419C: D1ED0028 00D20905
	v_cmp_u_f32_e64 s[46:47], v42, v42                         // 0000000041A4: D048002E 0002552A
	v_add3_u32 v16, v42, v19, 1                                // 0000000041AC: D1FF0010 0206272A
	v_cndmask_b32_e64 v4, v16, v18, s[46:47]                   // 0000000041B4: D1000004 00BA2510
	v_cmp_u_f32_e64 s[46:47], v43, v43                         // 0000000041BC: D048002E 0002572B
	v_add3_u32 v16, v43, v19, 1                                // 0000000041C4: D1FF0010 0206272B
	v_cndmask_b32_e64 v5, v16, v18, s[46:47]                   // 0000000041CC: D1000005 00BA2510
	v_perm_b32 v41, v5, v4, s52                                // 0000000041D4: D1ED0029 00D20905
	v_cmp_u_f32_e64 s[46:47], v44, v44                         // 0000000041DC: D048002E 0002592C
	v_add3_u32 v16, v44, v19, 1                                // 0000000041E4: D1FF0010 0206272C
	v_cndmask_b32_e64 v4, v16, v18, s[46:47]                   // 0000000041EC: D1000004 00BA2510
	v_cmp_u_f32_e64 s[46:47], v45, v45                         // 0000000041F4: D048002E 00025B2D
	v_add3_u32 v16, v45, v19, 1                                // 0000000041FC: D1FF0010 0206272D
	v_cndmask_b32_e64 v5, v16, v18, s[46:47]                   // 000000004204: D1000005 00BA2510
	v_perm_b32 v42, v5, v4, s52                                // 00000000420C: D1ED002A 00D20905
	v_cmp_u_f32_e64 s[46:47], v46, v46                         // 000000004214: D048002E 00025D2E
	v_add3_u32 v16, v46, v19, 1                                // 00000000421C: D1FF0010 0206272E
	v_cndmask_b32_e64 v4, v16, v18, s[46:47]                   // 000000004224: D1000004 00BA2510
	v_cmp_u_f32_e64 s[46:47], v47, v47                         // 00000000422C: D048002E 00025F2F
	v_add3_u32 v16, v47, v19, 1                                // 000000004234: D1FF0010 0206272F
	v_cndmask_b32_e64 v5, v16, v18, s[46:47]                   // 00000000423C: D1000005 00BA2510
	v_perm_b32 v43, v5, v4, s52                                // 000000004244: D1ED002B 00D20905
	v_cmp_u_f32_e64 s[46:47], v48, v48                         // 00000000424C: D048002E 00026130
	v_add3_u32 v16, v48, v19, 1                                // 000000004254: D1FF0010 02062730
	v_cndmask_b32_e64 v4, v16, v18, s[46:47]                   // 00000000425C: D1000004 00BA2510
	v_cmp_u_f32_e64 s[46:47], v49, v49                         // 000000004264: D048002E 00026331
	v_add3_u32 v16, v49, v19, 1                                // 00000000426C: D1FF0010 02062731
	v_cndmask_b32_e64 v5, v16, v18, s[46:47]                   // 000000004274: D1000005 00BA2510
	v_perm_b32 v44, v5, v4, s52                                // 00000000427C: D1ED002C 00D20905
	v_cmp_u_f32_e64 s[46:47], v50, v50                         // 000000004284: D048002E 00026532
	v_add3_u32 v16, v50, v19, 1                                // 00000000428C: D1FF0010 02062732
	v_cndmask_b32_e64 v4, v16, v18, s[46:47]                   // 000000004294: D1000004 00BA2510
	v_cmp_u_f32_e64 s[46:47], v51, v51                         // 00000000429C: D048002E 00026733
	v_add3_u32 v16, v51, v19, 1                                // 0000000042A4: D1FF0010 02062733
	v_cndmask_b32_e64 v5, v16, v18, s[46:47]                   // 0000000042AC: D1000005 00BA2510
	v_perm_b32 v45, v5, v4, s52                                // 0000000042B4: D1ED002D 00D20905
	ds_write_b64 v20, v[40:41]                                 // 0000000042BC: D89A0000 00002814
	ds_write_b64 v20, v[42:43] offset:2176                     // 0000000042C4: D89A0880 00002A14
	ds_write_b64 v20, v[44:45] offset:4352                     // 0000000042CC: D89A1100 00002C14
	v_lshrrev_b32_e32 v4, 5, v0                                // 0000000042D4: 20080085
	v_xor_b32_e32 v5, 1, v4                                    // 0000000042D8: 2A0A0881
	s_mul_i32 s60, s65, 2                                      // 0000000042DC: 923C8241
	s_cmp_eq_u32 s88, 0                                        // 0000000042E0: BF068058
	s_cselect_b32 s61, 1, 4                                    // 0000000042E4: 853D8481
	s_mul_i32 s60, s61, s60                                    // 0000000042E8: 923C3C3D
	v_readlane_b32 s82, v3, 0                                  // 0000000042EC: D2890052 00010103
	s_lshr_b32 s61, s82, 24                                    // 0000000042F4: 8F3D9852
	s_and_b32 s82, s82, 0xffffff                               // 0000000042F8: 8652FF52 00FFFFFF
	s_mul_i32 s82, s82, s71                                    // 000000004300: 92524752
	s_mul_i32 s61, s60, s61                                    // 000000004304: 923D3D3C
	s_add_u32 s82, s82, s61                                    // 000000004308: 80523D52
	v_mul_lo_u32 v6, v5, s82                                   // 00000000430C: D2850006 0000A505
	v_readlane_b32 s82, v3, 1                                  // 000000004314: D2890052 00010303
	s_lshr_b32 s61, s82, 24                                    // 00000000431C: 8F3D9852
	s_and_b32 s82, s82, 0xffffff                               // 000000004320: 8652FF52 00FFFFFF
	s_mul_i32 s82, s82, s71                                    // 000000004328: 92524752
	s_mul_i32 s61, s60, s61                                    // 00000000432C: 923D3D3C
	s_add_u32 s82, s82, s61                                    // 000000004330: 80523D52
	v_mul_lo_u32 v7, v4, s82                                   // 000000004334: D2850007 0000A504
	v_add_u32_e32 v34, v6, v7                                  // 00000000433C: 68440F06
	v_readlane_b32 s82, v3, 2                                  // 000000004340: D2890052 00010503
	s_lshr_b32 s61, s82, 24                                    // 000000004348: 8F3D9852
	s_and_b32 s82, s82, 0xffffff                               // 00000000434C: 8652FF52 00FFFFFF
	s_mul_i32 s82, s82, s71                                    // 000000004354: 92524752
	s_mul_i32 s61, s60, s61                                    // 000000004358: 923D3D3C
	s_add_u32 s82, s82, s61                                    // 00000000435C: 80523D52
	v_mul_lo_u32 v6, v5, s82                                   // 000000004360: D2850006 0000A505
	v_readlane_b32 s82, v3, 3                                  // 000000004368: D2890052 00010703
	s_lshr_b32 s61, s82, 24                                    // 000000004370: 8F3D9852
	s_and_b32 s82, s82, 0xffffff                               // 000000004374: 8652FF52 00FFFFFF
	s_mul_i32 s82, s82, s71                                    // 00000000437C: 92524752
	s_mul_i32 s61, s60, s61                                    // 000000004380: 923D3D3C
	s_add_u32 s82, s82, s61                                    // 000000004384: 80523D52
	v_mul_lo_u32 v7, v4, s82                                   // 000000004388: D2850007 0000A504
	v_add_u32_e32 v35, v6, v7                                  // 000000004390: 68460F06
	v_and_b32_e32 v4, 31, v0                                   // 000000004394: 2608009F
	v_lshrrev_b32_e32 v4, 1, v4                                // 000000004398: 20080881
	s_cmp_eq_u32 s88, 0                                        // 00000000439C: BF068058
	s_cselect_b32 s61, 2, 4                                    // 0000000043A0: 853D8482
	v_mul_lo_u32 v4, v4, s61                                   // 0000000043A4: D2850004 00007B04
	v_and_b32_e64 v5, v0, 1                                    // 0000000043AC: D1130005 00010300
	v_add_u32_e32 v4, v4, v5                                   // 0000000043B4: 68080B04
	v_lshlrev_b32_e32 v4, 2, v4                                // 0000000043B8: 24080882
	v_add_u32_e32 v34, v34, v4                                 // 0000000043BC: 68440922
	v_add_u32_e32 v35, v35, v4                                 // 0000000043C0: 68460923
	s_waitcnt lgkmcnt(0)                                       // 0000000043C4: BF8CC07F
	s_barrier                                                  // 0000000043C8: BF8A0000
	ds_read_b32 v40, v21                                       // 0000000043CC: D86C0000 28000015
	ds_read_b32 v41, v21 offset:64                             // 0000000043D4: D86C0040 29000015
	ds_read_b32 v42, v21 offset:2176                           // 0000000043DC: D86C0880 2A000015
	ds_read_b32 v43, v21 offset:2240                           // 0000000043E4: D86C08C0 2B000015
	ds_read_b32 v44, v21 offset:4352                           // 0000000043EC: D86C1100 2C000015
	ds_read_b32 v45, v21 offset:4416                           // 0000000043F4: D86C1140 2D000015
	s_waitcnt lgkmcnt(0)                                       // 0000000043FC: BF8CC07F
	s_mov_b32 s36, -1                                          // 000000004400: BEA400C1
	s_mov_b32 s37, -1                                          // 000000004404: BEA500C1
	v_mov_b32_e32 v7, 0                                        // 000000004408: 7E0E0280
	s_or_b32 s9, s9, 0x40000                                   // 00000000440C: 8709FF09 00040000
	s_mov_b64 exec, s[36:37]                                   // 000000004414: BEFE0124
	v_mov_b32_e32 v6, v34                                      // 000000004418: 7E0C0322
	s_mov_b64 s[60:61], 0                                      // 00000000441C: BEBC0180
	v_readlane_b32 s82, v3, 0                                  // 000000004420: D2890052 00010103
	s_and_b32 s82, s82, 0xffffff                               // 000000004428: 8652FF52 00FFFFFF
	s_cmp_lt_u32 s82, s66                                      // 000000004430: BF0A4252
	s_cselect_b32 s20, s36, s60                                // 000000004434: 85143C24
	v_readlane_b32 s82, v3, 1                                  // 000000004438: D2890052 00010303
	s_and_b32 s82, s82, 0xffffff                               // 000000004440: 8652FF52 00FFFFFF
	s_cmp_lt_u32 s82, s66                                      // 000000004448: BF0A4252
	s_cselect_b32 s21, s36, s60                                // 00000000444C: 85153C24
	s_mov_b64 exec, s[20:21]                                   // 000000004450: BEFE0114
	buffer_store_dword v40, v6, s[8:11], 0 offen               // 000000004454: E0701000 80022806
	buffer_store_dword v42, v6, s[8:11], 0 offen offset:128    // 00000000445C: E0701080 80022A06
	buffer_store_dword v44, v6, s[8:11], 0 offen offset:256    // 000000004464: E0701100 80022C06
	s_mov_b64 exec, s[36:37]                                   // 00000000446C: BEFE0124
	v_mov_b32_e32 v6, v35                                      // 000000004470: 7E0C0323
	s_mov_b64 s[60:61], 0                                      // 000000004474: BEBC0180
	v_readlane_b32 s82, v3, 2                                  // 000000004478: D2890052 00010503
	s_and_b32 s82, s82, 0xffffff                               // 000000004480: 8652FF52 00FFFFFF
	s_cmp_lt_u32 s82, s66                                      // 000000004488: BF0A4252
	s_cselect_b32 s20, s36, s60                                // 00000000448C: 85143C24
	v_readlane_b32 s82, v3, 3                                  // 000000004490: D2890052 00010703
	s_and_b32 s82, s82, 0xffffff                               // 000000004498: 8652FF52 00FFFFFF
	s_cmp_lt_u32 s82, s66                                      // 0000000044A0: BF0A4252
	s_cselect_b32 s21, s36, s60                                // 0000000044A4: 85153C24
	s_mov_b64 exec, s[20:21]                                   // 0000000044A8: BEFE0114
	buffer_store_dword v41, v6, s[8:11], 0 offen               // 0000000044AC: E0701000 80022906
	buffer_store_dword v43, v6, s[8:11], 0 offen offset:128    // 0000000044B4: E0701080 80022B06
	buffer_store_dword v45, v6, s[8:11], 0 offen offset:256    // 0000000044BC: E0701100 80022D06
	s_mov_b64 exec, s[36:37]                                   // 0000000044C4: BEFE0124
	s_branch label_0D70                                        // 0000000044C8: BF82073A

00000000000044cc <label_0633>:
	ds_write_b64 v20, v[40:41]                                 // 0000000044CC: D89A0000 00002814
	ds_write_b64 v20, v[44:45] offset:2176                     // 0000000044D4: D89A0880 00002C14
	ds_write_b64 v20, v[48:49] offset:4352                     // 0000000044DC: D89A1100 00003014
	v_lshrrev_b32_e32 v4, 5, v0                                // 0000000044E4: 20080085
	v_xor_b32_e32 v5, 1, v4                                    // 0000000044E8: 2A0A0881
	s_mul_i32 s60, s65, 2                                      // 0000000044EC: 923C8241
	s_cmp_eq_u32 s88, 0                                        // 0000000044F0: BF068058
	s_cselect_b32 s61, 1, 4                                    // 0000000044F4: 853D8481
	s_mul_i32 s60, s61, s60                                    // 0000000044F8: 923C3C3D
	v_readlane_b32 s82, v3, 0                                  // 0000000044FC: D2890052 00010103
	s_lshr_b32 s61, s82, 24                                    // 000000004504: 8F3D9852
	s_and_b32 s82, s82, 0xffffff                               // 000000004508: 8652FF52 00FFFFFF
	s_mul_i32 s82, s82, s71                                    // 000000004510: 92524752
	s_mul_i32 s61, s60, s61                                    // 000000004514: 923D3D3C
	s_add_u32 s82, s82, s61                                    // 000000004518: 80523D52
	v_mul_lo_u32 v6, v5, s82                                   // 00000000451C: D2850006 0000A505
	v_readlane_b32 s82, v3, 1                                  // 000000004524: D2890052 00010303
	s_lshr_b32 s61, s82, 24                                    // 00000000452C: 8F3D9852
	s_and_b32 s82, s82, 0xffffff                               // 000000004530: 8652FF52 00FFFFFF
	s_mul_i32 s82, s82, s71                                    // 000000004538: 92524752
	s_mul_i32 s61, s60, s61                                    // 00000000453C: 923D3D3C
	s_add_u32 s82, s82, s61                                    // 000000004540: 80523D52
	v_mul_lo_u32 v7, v4, s82                                   // 000000004544: D2850007 0000A504
	v_add_u32_e32 v34, v6, v7                                  // 00000000454C: 68440F06
	v_readlane_b32 s82, v3, 2                                  // 000000004550: D2890052 00010503
	s_lshr_b32 s61, s82, 24                                    // 000000004558: 8F3D9852
	s_and_b32 s82, s82, 0xffffff                               // 00000000455C: 8652FF52 00FFFFFF
	s_mul_i32 s82, s82, s71                                    // 000000004564: 92524752
	s_mul_i32 s61, s60, s61                                    // 000000004568: 923D3D3C
	s_add_u32 s82, s82, s61                                    // 00000000456C: 80523D52
	v_mul_lo_u32 v6, v5, s82                                   // 000000004570: D2850006 0000A505
	v_readlane_b32 s82, v3, 3                                  // 000000004578: D2890052 00010703
	s_lshr_b32 s61, s82, 24                                    // 000000004580: 8F3D9852
	s_and_b32 s82, s82, 0xffffff                               // 000000004584: 8652FF52 00FFFFFF
	s_mul_i32 s82, s82, s71                                    // 00000000458C: 92524752
	s_mul_i32 s61, s60, s61                                    // 000000004590: 923D3D3C
	s_add_u32 s82, s82, s61                                    // 000000004594: 80523D52
	v_mul_lo_u32 v7, v4, s82                                   // 000000004598: D2850007 0000A504
	v_add_u32_e32 v35, v6, v7                                  // 0000000045A0: 68460F06
	v_and_b32_e32 v4, 31, v0                                   // 0000000045A4: 2608009F
	v_lshrrev_b32_e32 v4, 1, v4                                // 0000000045A8: 20080881
	s_cmp_eq_u32 s88, 0                                        // 0000000045AC: BF068058
	s_cselect_b32 s61, 2, 4                                    // 0000000045B0: 853D8482
	v_mul_lo_u32 v4, v4, s61                                   // 0000000045B4: D2850004 00007B04
	v_and_b32_e64 v5, v0, 1                                    // 0000000045BC: D1130005 00010300
	v_add_u32_e32 v4, v4, v5                                   // 0000000045C4: 68080B04
	v_lshlrev_b32_e32 v4, 2, v4                                // 0000000045C8: 24080882
	v_add_u32_e32 v34, v34, v4                                 // 0000000045CC: 68440922
	v_add_u32_e32 v35, v35, v4                                 // 0000000045D0: 68460923
	s_waitcnt lgkmcnt(0)                                       // 0000000045D4: BF8CC07F
	s_barrier                                                  // 0000000045D8: BF8A0000
	ds_read_b32 v40, v21                                       // 0000000045DC: D86C0000 28000015
	ds_read_b32 v41, v21 offset:64                             // 0000000045E4: D86C0040 29000015
	ds_read_b32 v44, v21 offset:2176                           // 0000000045EC: D86C0880 2C000015
	ds_read_b32 v45, v21 offset:2240                           // 0000000045F4: D86C08C0 2D000015
	ds_read_b32 v48, v21 offset:4352                           // 0000000045FC: D86C1100 30000015
	ds_read_b32 v49, v21 offset:4416                           // 000000004604: D86C1140 31000015
	s_waitcnt lgkmcnt(0)                                       // 00000000460C: BF8CC07F
	s_mov_b32 s36, -1                                          // 000000004610: BEA400C1
	s_mov_b32 s37, -1                                          // 000000004614: BEA500C1
	v_mov_b32_e32 v7, 0                                        // 000000004618: 7E0E0280
	s_mov_b64 exec, s[36:37]                                   // 00000000461C: BEFE0124
	v_mov_b32_e32 v6, v34                                      // 000000004620: 7E0C0322
	s_mov_b64 s[60:61], 0                                      // 000000004624: BEBC0180
	v_readlane_b32 s82, v3, 0                                  // 000000004628: D2890052 00010103
	s_and_b32 s82, s82, 0xffffff                               // 000000004630: 8652FF52 00FFFFFF
	s_cmp_lt_u32 s82, s66                                      // 000000004638: BF0A4252
	s_cselect_b32 s20, s36, s60                                // 00000000463C: 85143C24
	v_readlane_b32 s82, v3, 1                                  // 000000004640: D2890052 00010303
	s_and_b32 s82, s82, 0xffffff                               // 000000004648: 8652FF52 00FFFFFF
	s_cmp_lt_u32 s82, s66                                      // 000000004650: BF0A4252
	s_cselect_b32 s21, s36, s60                                // 000000004654: 85153C24
	s_mov_b64 exec, s[20:21]                                   // 000000004658: BEFE0114
	global_atomic_add_f32 v6, v40, s[8:9]                      // 00000000465C: DD348000 00082806
	global_atomic_add_f32 v6, v44, s[8:9] offset:256           // 000000004664: DD348100 00082C06
	global_atomic_add_f32 v6, v48, s[8:9] offset:512           // 00000000466C: DD348200 00083006
	s_mov_b64 exec, s[36:37]                                   // 000000004674: BEFE0124
	v_mov_b32_e32 v6, v35                                      // 000000004678: 7E0C0323
	s_mov_b64 s[60:61], 0                                      // 00000000467C: BEBC0180
	v_readlane_b32 s82, v3, 2                                  // 000000004680: D2890052 00010503
	s_and_b32 s82, s82, 0xffffff                               // 000000004688: 8652FF52 00FFFFFF
	s_cmp_lt_u32 s82, s66                                      // 000000004690: BF0A4252
	s_cselect_b32 s20, s36, s60                                // 000000004694: 85143C24
	v_readlane_b32 s82, v3, 3                                  // 000000004698: D2890052 00010703
	s_and_b32 s82, s82, 0xffffff                               // 0000000046A0: 8652FF52 00FFFFFF
	s_cmp_lt_u32 s82, s66                                      // 0000000046A8: BF0A4252
	s_cselect_b32 s21, s36, s60                                // 0000000046AC: 85153C24
	s_mov_b64 exec, s[20:21]                                   // 0000000046B0: BEFE0114
	global_atomic_add_f32 v6, v41, s[8:9]                      // 0000000046B4: DD348000 00082906
	global_atomic_add_f32 v6, v45, s[8:9] offset:256           // 0000000046BC: DD348100 00082D06
	global_atomic_add_f32 v6, v49, s[8:9] offset:512           // 0000000046C4: DD348200 00083106
	s_mov_b64 exec, s[36:37]                                   // 0000000046CC: BEFE0124
	ds_write_b64 v20, v[42:43]                                 // 0000000046D0: D89A0000 00002A14
	ds_write_b64 v20, v[46:47] offset:2176                     // 0000000046D8: D89A0880 00002E14
	ds_write_b64 v20, v[50:51] offset:4352                     // 0000000046E0: D89A1100 00003214
	s_waitcnt lgkmcnt(0)                                       // 0000000046E8: BF8CC07F
	s_barrier                                                  // 0000000046EC: BF8A0000
	ds_read_b32 v42, v21                                       // 0000000046F0: D86C0000 2A000015
	ds_read_b32 v43, v21 offset:64                             // 0000000046F8: D86C0040 2B000015
	ds_read_b32 v46, v21 offset:2176                           // 000000004700: D86C0880 2E000015
	ds_read_b32 v47, v21 offset:2240                           // 000000004708: D86C08C0 2F000015
	ds_read_b32 v50, v21 offset:4352                           // 000000004710: D86C1100 32000015
	ds_read_b32 v51, v21 offset:4416                           // 000000004718: D86C1140 33000015
	s_waitcnt lgkmcnt(0)                                       // 000000004720: BF8CC07F
	v_mov_b32_e32 v7, 0                                        // 000000004724: 7E0E0280
	s_mov_b64 exec, s[36:37]                                   // 000000004728: BEFE0124
	v_mov_b32_e32 v6, v34                                      // 00000000472C: 7E0C0322
	s_mov_b64 s[60:61], 0                                      // 000000004730: BEBC0180
	v_readlane_b32 s82, v3, 0                                  // 000000004734: D2890052 00010103
	s_and_b32 s82, s82, 0xffffff                               // 00000000473C: 8652FF52 00FFFFFF
	s_cmp_lt_u32 s82, s66                                      // 000000004744: BF0A4252
	s_cselect_b32 s20, s36, s60                                // 000000004748: 85143C24
	v_readlane_b32 s82, v3, 1                                  // 00000000474C: D2890052 00010303
	s_and_b32 s82, s82, 0xffffff                               // 000000004754: 8652FF52 00FFFFFF
	s_cmp_lt_u32 s82, s66                                      // 00000000475C: BF0A4252
	s_cselect_b32 s21, s36, s60                                // 000000004760: 85153C24
	s_mov_b64 exec, s[20:21]                                   // 000000004764: BEFE0114
	global_atomic_add_f32 v6, v42, s[8:9] offset:8             // 000000004768: DD348008 00082A06
	global_atomic_add_f32 v6, v46, s[8:9] offset:264           // 000000004770: DD348108 00082E06
	global_atomic_add_f32 v6, v50, s[8:9] offset:520           // 000000004778: DD348208 00083206
	s_mov_b64 exec, s[36:37]                                   // 000000004780: BEFE0124
	v_mov_b32_e32 v6, v35                                      // 000000004784: 7E0C0323
	s_mov_b64 s[60:61], 0                                      // 000000004788: BEBC0180
	v_readlane_b32 s82, v3, 2                                  // 00000000478C: D2890052 00010503
	s_and_b32 s82, s82, 0xffffff                               // 000000004794: 8652FF52 00FFFFFF
	s_cmp_lt_u32 s82, s66                                      // 00000000479C: BF0A4252
	s_cselect_b32 s20, s36, s60                                // 0000000047A0: 85143C24
	v_readlane_b32 s82, v3, 3                                  // 0000000047A4: D2890052 00010703
	s_and_b32 s82, s82, 0xffffff                               // 0000000047AC: 8652FF52 00FFFFFF
	s_cmp_lt_u32 s82, s66                                      // 0000000047B4: BF0A4252
	s_cselect_b32 s21, s36, s60                                // 0000000047B8: 85153C24
	s_mov_b64 exec, s[20:21]                                   // 0000000047BC: BEFE0114
	global_atomic_add_f32 v6, v43, s[8:9] offset:8             // 0000000047C0: DD348008 00082B06
	global_atomic_add_f32 v6, v47, s[8:9] offset:264           // 0000000047C8: DD348108 00082F06
	global_atomic_add_f32 v6, v51, s[8:9] offset:520           // 0000000047D0: DD348208 00083306
	s_mov_b64 exec, s[36:37]                                   // 0000000047D8: BEFE0124
	ds_write_b64 v20, v[52:53]                                 // 0000000047DC: D89A0000 00003414
	ds_write_b64 v20, v[56:57] offset:2176                     // 0000000047E4: D89A0880 00003814
	ds_write_b64 v20, v[60:61] offset:4352                     // 0000000047EC: D89A1100 00003C14
	s_waitcnt lgkmcnt(0)                                       // 0000000047F4: BF8CC07F
	s_barrier                                                  // 0000000047F8: BF8A0000
	ds_read_b32 v52, v21                                       // 0000000047FC: D86C0000 34000015
	ds_read_b32 v53, v21 offset:64                             // 000000004804: D86C0040 35000015
	ds_read_b32 v56, v21 offset:2176                           // 00000000480C: D86C0880 38000015
	ds_read_b32 v57, v21 offset:2240                           // 000000004814: D86C08C0 39000015
	ds_read_b32 v60, v21 offset:4352                           // 00000000481C: D86C1100 3C000015
	ds_read_b32 v61, v21 offset:4416                           // 000000004824: D86C1140 3D000015
	s_mul_i32 s60, s65, 4                                      // 00000000482C: 923C8441
	s_add_u32 s8, s60, s8                                      // 000000004830: 8008083C
	s_addc_u32 s9, 0, s9                                       // 000000004834: 82090980
	s_waitcnt lgkmcnt(0)                                       // 000000004838: BF8CC07F
	v_mov_b32_e32 v7, 0                                        // 00000000483C: 7E0E0280
	s_mov_b64 exec, s[36:37]                                   // 000000004840: BEFE0124
	v_mov_b32_e32 v6, v34                                      // 000000004844: 7E0C0322
	s_mov_b64 s[60:61], 0                                      // 000000004848: BEBC0180
	v_readlane_b32 s82, v3, 0                                  // 00000000484C: D2890052 00010103
	s_and_b32 s82, s82, 0xffffff                               // 000000004854: 8652FF52 00FFFFFF
	s_cmp_lt_u32 s82, s66                                      // 00000000485C: BF0A4252
	s_cselect_b32 s20, s36, s60                                // 000000004860: 85143C24
	v_readlane_b32 s82, v3, 1                                  // 000000004864: D2890052 00010303
	s_and_b32 s82, s82, 0xffffff                               // 00000000486C: 8652FF52 00FFFFFF
	s_cmp_lt_u32 s82, s66                                      // 000000004874: BF0A4252
	s_cselect_b32 s21, s36, s60                                // 000000004878: 85153C24
	s_mov_b64 exec, s[20:21]                                   // 00000000487C: BEFE0114
	global_atomic_add_f32 v6, v52, s[8:9]                      // 000000004880: DD348000 00083406
	global_atomic_add_f32 v6, v56, s[8:9] offset:256           // 000000004888: DD348100 00083806
	global_atomic_add_f32 v6, v60, s[8:9] offset:512           // 000000004890: DD348200 00083C06
	s_mov_b64 exec, s[36:37]                                   // 000000004898: BEFE0124
	v_mov_b32_e32 v6, v35                                      // 00000000489C: 7E0C0323
	s_mov_b64 s[60:61], 0                                      // 0000000048A0: BEBC0180
	v_readlane_b32 s82, v3, 2                                  // 0000000048A4: D2890052 00010503
	s_and_b32 s82, s82, 0xffffff                               // 0000000048AC: 8652FF52 00FFFFFF
	s_cmp_lt_u32 s82, s66                                      // 0000000048B4: BF0A4252
	s_cselect_b32 s20, s36, s60                                // 0000000048B8: 85143C24
	v_readlane_b32 s82, v3, 3                                  // 0000000048BC: D2890052 00010703
	s_and_b32 s82, s82, 0xffffff                               // 0000000048C4: 8652FF52 00FFFFFF
	s_cmp_lt_u32 s82, s66                                      // 0000000048CC: BF0A4252
	s_cselect_b32 s21, s36, s60                                // 0000000048D0: 85153C24
	s_mov_b64 exec, s[20:21]                                   // 0000000048D4: BEFE0114
	global_atomic_add_f32 v6, v53, s[8:9]                      // 0000000048D8: DD348000 00083506
	global_atomic_add_f32 v6, v57, s[8:9] offset:256           // 0000000048E0: DD348100 00083906
	global_atomic_add_f32 v6, v61, s[8:9] offset:512           // 0000000048E8: DD348200 00083D06
	s_mov_b64 exec, s[36:37]                                   // 0000000048F0: BEFE0124
	ds_write_b64 v20, v[54:55]                                 // 0000000048F4: D89A0000 00003614
	ds_write_b64 v20, v[58:59] offset:2176                     // 0000000048FC: D89A0880 00003A14
	ds_write_b64 v20, v[62:63] offset:4352                     // 000000004904: D89A1100 00003E14
	s_waitcnt lgkmcnt(0)                                       // 00000000490C: BF8CC07F
	s_barrier                                                  // 000000004910: BF8A0000
	ds_read_b32 v54, v21                                       // 000000004914: D86C0000 36000015
	ds_read_b32 v55, v21 offset:64                             // 00000000491C: D86C0040 37000015
	ds_read_b32 v58, v21 offset:2176                           // 000000004924: D86C0880 3A000015
	ds_read_b32 v59, v21 offset:2240                           // 00000000492C: D86C08C0 3B000015
	ds_read_b32 v62, v21 offset:4352                           // 000000004934: D86C1100 3E000015
	ds_read_b32 v63, v21 offset:4416                           // 00000000493C: D86C1140 3F000015
	s_waitcnt lgkmcnt(0)                                       // 000000004944: BF8CC07F
	v_mov_b32_e32 v7, 0                                        // 000000004948: 7E0E0280
	s_mov_b64 exec, s[36:37]                                   // 00000000494C: BEFE0124
	v_mov_b32_e32 v6, v34                                      // 000000004950: 7E0C0322
	s_mov_b64 s[60:61], 0                                      // 000000004954: BEBC0180
	v_readlane_b32 s82, v3, 0                                  // 000000004958: D2890052 00010103
	s_and_b32 s82, s82, 0xffffff                               // 000000004960: 8652FF52 00FFFFFF
	s_cmp_lt_u32 s82, s66                                      // 000000004968: BF0A4252
	s_cselect_b32 s20, s36, s60                                // 00000000496C: 85143C24
	v_readlane_b32 s82, v3, 1                                  // 000000004970: D2890052 00010303
	s_and_b32 s82, s82, 0xffffff                               // 000000004978: 8652FF52 00FFFFFF
	s_cmp_lt_u32 s82, s66                                      // 000000004980: BF0A4252
	s_cselect_b32 s21, s36, s60                                // 000000004984: 85153C24
	s_mov_b64 exec, s[20:21]                                   // 000000004988: BEFE0114
	global_atomic_add_f32 v6, v54, s[8:9] offset:8             // 00000000498C: DD348008 00083606
	global_atomic_add_f32 v6, v58, s[8:9] offset:264           // 000000004994: DD348108 00083A06
	global_atomic_add_f32 v6, v62, s[8:9] offset:520           // 00000000499C: DD348208 00083E06
	s_mov_b64 exec, s[36:37]                                   // 0000000049A4: BEFE0124
	v_mov_b32_e32 v6, v35                                      // 0000000049A8: 7E0C0323
	s_mov_b64 s[60:61], 0                                      // 0000000049AC: BEBC0180
	v_readlane_b32 s82, v3, 2                                  // 0000000049B0: D2890052 00010503
	s_and_b32 s82, s82, 0xffffff                               // 0000000049B8: 8652FF52 00FFFFFF
	s_cmp_lt_u32 s82, s66                                      // 0000000049C0: BF0A4252
	s_cselect_b32 s20, s36, s60                                // 0000000049C4: 85143C24
	v_readlane_b32 s82, v3, 3                                  // 0000000049C8: D2890052 00010703
	s_and_b32 s82, s82, 0xffffff                               // 0000000049D0: 8652FF52 00FFFFFF
	s_cmp_lt_u32 s82, s66                                      // 0000000049D8: BF0A4252
	s_cselect_b32 s21, s36, s60                                // 0000000049DC: 85153C24
	s_mov_b64 exec, s[20:21]                                   // 0000000049E0: BEFE0114
	global_atomic_add_f32 v6, v55, s[8:9] offset:8             // 0000000049E4: DD348008 00083706
	global_atomic_add_f32 v6, v59, s[8:9] offset:264           // 0000000049EC: DD348108 00083B06
	global_atomic_add_f32 v6, v63, s[8:9] offset:520           // 0000000049F4: DD348208 00083F06
	s_mov_b64 exec, s[36:37]                                   // 0000000049FC: BEFE0124
	s_branch label_0D70                                        // 000000004A00: BF8205EC

0000000000004a04 <label_0784>:
	s_waitcnt vmcnt(8) lgkmcnt(0)                              // 000000004A04: BF8C0078
	v_mfma_i32_16x16x32_i8 v[40:43], a[16:17], a[0:1], v[40:43]// 000000004A08: D3D70028 1CA20110
	buffer_load_dwordx4 a[64:67], v36, s[24:27], 0 offen       // 000000004A10: E05C1000 80864024
	v_mfma_i32_16x16x32_i8 v[40:43], a[18:19], a[2:3], v[40:43]// 000000004A18: D3D70028 1CA20512
	v_mfma_i32_16x16x32_i8 v[40:43], a[20:21], a[4:5], v[40:43]// 000000004A20: D3D70028 1CA20914
	v_mfma_i32_16x16x32_i8 v[40:43], a[22:23], a[6:7], v[40:43]// 000000004A28: D3D70028 1CA20D16
	v_mfma_i32_16x16x32_i8 v[44:47], a[24:25], a[0:1], v[44:47]// 000000004A30: D3D7002C 1CB20118
	buffer_load_dwordx4 a[68:71], v36, s[24:27], 0 offen offset:1024// 000000004A38: E05C1400 80864424
	v_mfma_i32_16x16x32_i8 v[44:47], a[26:27], a[2:3], v[44:47]// 000000004A40: D3D7002C 1CB2051A
	v_mfma_i32_16x16x32_i8 v[44:47], a[28:29], a[4:5], v[44:47]// 000000004A48: D3D7002C 1CB2091C
	v_mfma_i32_16x16x32_i8 v[44:47], a[30:31], a[6:7], v[44:47]// 000000004A50: D3D7002C 1CB20D1E
	v_mfma_i32_16x16x32_i8 v[48:51], a[32:33], a[0:1], v[48:51]// 000000004A58: D3D70030 1CC20120
	buffer_load_dwordx4 a[72:75], v37, s[24:27], 0 offen       // 000000004A60: E05C1000 80864825
	v_mfma_i32_16x16x32_i8 v[48:51], a[34:35], a[2:3], v[48:51]// 000000004A68: D3D70030 1CC20522
	v_mfma_i32_16x16x32_i8 v[48:51], a[36:37], a[4:5], v[48:51]// 000000004A70: D3D70030 1CC20924
	v_mfma_i32_16x16x32_i8 v[48:51], a[38:39], a[6:7], v[48:51]// 000000004A78: D3D70030 1CC20D26
	buffer_load_dwordx4 a[76:79], v37, s[24:27], 0 offen offset:1024// 000000004A80: E05C1400 80864C25
	buffer_load_dwordx4 a[80:83], v38, s[24:27], 0 offen       // 000000004A88: E05C1000 80865026
	buffer_load_dwordx4 a[84:87], v38, s[24:27], 0 offen offset:1024// 000000004A90: E05C1400 80865426
	buffer_load_dword v34, s[20:23], 0 offen lds               // 000000004A98: E0511000 80050022
	s_add_u32 m0, 0x100, s50                                   // 000000004AA0: 807C32FF 00000100
	buffer_load_dword v35, s[20:23], 0 offen lds               // 000000004AA8: E0511000 80050023
	s_add_u32 m0, 0, s48                                       // 000000004AB0: 807C3080
	s_waitcnt vmcnt(8)                                         // 000000004AB4: BF8C0F78
	s_barrier                                                  // 000000004AB8: BF8A0000
	v_mfma_i32_16x16x32_i8 v[52:55], a[40:41], a[0:1], v[52:55]// 000000004ABC: D3D70034 1CD20128
	buffer_load_dwordx4 a[16:19], v36, s[84:87], 0 offen       // 000000004AC4: E05C1000 80951024
	v_mfma_i32_16x16x32_i8 v[52:55], a[42:43], a[2:3], v[52:55]// 000000004ACC: D3D70034 1CD2052A
	v_mfma_i32_16x16x32_i8 v[52:55], a[44:45], a[4:5], v[52:55]// 000000004AD4: D3D70034 1CD2092C
	ds_read_b128 a[8:11], v2 offset:2176                       // 000000004ADC: DBFE0880 08000002
	ds_read_b128 a[12:15], v2 offset:2240                      // 000000004AE4: DBFE08C0 0C000002
	v_mfma_i32_16x16x32_i8 v[52:55], a[46:47], a[6:7], v[52:55]// 000000004AEC: D3D70034 1CD20D2E
	v_mfma_i32_16x16x32_i8 v[56:59], a[48:49], a[0:1], v[56:59]// 000000004AF4: D3D70038 1CE20130
	buffer_load_dwordx4 a[20:23], v36, s[84:87], 0 offen offset:1024// 000000004AFC: E05C1400 80951424
	s_add_u32 s60, 0x180, s80                                  // 000000004B04: 803C50FF 00000180
	s_cmp_lt_u32 s60, s81                                      // 000000004B0C: BF0A513C
	s_cselect_b32 s57, s57, 0                                  // 000000004B10: 85398039
	v_mfma_i32_16x16x32_i8 v[56:59], a[50:51], a[2:3], v[56:59]// 000000004B14: D3D70038 1CE20532
	s_add_u32 s60, 0x100, s80                                  // 000000004B1C: 803C50FF 00000100
	s_cmp_lt_u32 s60, s81                                      // 000000004B24: BF0A513C
	s_cselect_b32 s58, s58, 0                                  // 000000004B28: 853A803A
	v_mfma_i32_16x16x32_i8 v[56:59], a[52:53], a[4:5], v[56:59]// 000000004B2C: D3D70038 1CE20934
	s_add_u32 s60, 0x100, s80                                  // 000000004B34: 803C50FF 00000100
	s_cmp_lt_u32 s60, s81                                      // 000000004B3C: BF0A513C
	s_cselect_b32 s83, s83, 0                                  // 000000004B40: 85538053
	v_mfma_i32_16x16x32_i8 v[56:59], a[54:55], a[6:7], v[56:59]// 000000004B44: D3D70038 1CE20D36
	s_add_u32 s24, s58, s24                                    // 000000004B4C: 8018183A
	s_addc_u32 s25, 0, s25                                     // 000000004B50: 82191980
	v_mfma_i32_16x16x32_i8 v[60:63], a[56:57], a[0:1], v[60:63]// 000000004B54: D3D7003C 1CF20138
	buffer_load_dwordx4 a[24:27], v37, s[84:87], 0 offen       // 000000004B5C: E05C1000 80951825
	s_add_u32 s20, s57, s20                                    // 000000004B64: 80141439
	s_addc_u32 s21, 0, s21                                     // 000000004B68: 82151580
	v_mfma_i32_16x16x32_i8 v[60:63], a[58:59], a[2:3], v[60:63]// 000000004B6C: D3D7003C 1CF2053A
	v_mfma_i32_16x16x32_i8 v[60:63], a[60:61], a[4:5], v[60:63]// 000000004B74: D3D7003C 1CF2093C
	v_mfma_i32_16x16x32_i8 v[60:63], a[62:63], a[6:7], v[60:63]// 000000004B7C: D3D7003C 1CF20D3E
	buffer_load_dwordx4 a[28:31], v37, s[84:87], 0 offen offset:1024// 000000004B84: E05C1400 80951C25
	buffer_load_dwordx4 a[32:35], v38, s[84:87], 0 offen       // 000000004B8C: E05C1000 80952026
	buffer_load_dwordx4 a[36:39], v38, s[84:87], 0 offen offset:1024// 000000004B94: E05C1400 80952426
	s_add_u32 s84, s83, s84                                    // 000000004B9C: 80545453
	s_addc_u32 s85, 0, s85                                     // 000000004BA0: 82555580
	s_addk_i32 s80, 0x80                                       // 000000004BA4: B7500080
	s_cmp_lt_i32 s80, s81                                      // 000000004BA8: BF045150
	s_cbranch_scc0 label_0A07                                  // 000000004BAC: BF840218
	s_waitcnt vmcnt(8) lgkmcnt(0)                              // 000000004BB0: BF8C0078
	v_mfma_i32_16x16x32_i8 v[40:43], a[64:65], a[8:9], v[40:43]// 000000004BB4: D3D70028 1CA21140
	buffer_load_dwordx4 a[40:43], v36, s[24:27], 0 offen       // 000000004BBC: E05C1000 80862824
	v_mfma_i32_16x16x32_i8 v[40:43], a[66:67], a[10:11], v[40:43]// 000000004BC4: D3D70028 1CA21542
	v_mfma_i32_16x16x32_i8 v[40:43], a[68:69], a[12:13], v[40:43]// 000000004BCC: D3D70028 1CA21944
	v_mfma_i32_16x16x32_i8 v[40:43], a[70:71], a[14:15], v[40:43]// 000000004BD4: D3D70028 1CA21D46
	v_mfma_i32_16x16x32_i8 v[44:47], a[72:73], a[8:9], v[44:47]// 000000004BDC: D3D7002C 1CB21148
	buffer_load_dwordx4 a[44:47], v36, s[24:27], 0 offen offset:1024// 000000004BE4: E05C1400 80862C24
	v_mfma_i32_16x16x32_i8 v[44:47], a[74:75], a[10:11], v[44:47]// 000000004BEC: D3D7002C 1CB2154A
	v_mfma_i32_16x16x32_i8 v[44:47], a[76:77], a[12:13], v[44:47]// 000000004BF4: D3D7002C 1CB2194C
	v_mfma_i32_16x16x32_i8 v[44:47], a[78:79], a[14:15], v[44:47]// 000000004BFC: D3D7002C 1CB21D4E
	v_mfma_i32_16x16x32_i8 v[48:51], a[80:81], a[8:9], v[48:51]// 000000004C04: D3D70030 1CC21150
	buffer_load_dwordx4 a[48:51], v37, s[24:27], 0 offen       // 000000004C0C: E05C1000 80863025
	v_mfma_i32_16x16x32_i8 v[48:51], a[82:83], a[10:11], v[48:51]// 000000004C14: D3D70030 1CC21552
	v_mfma_i32_16x16x32_i8 v[48:51], a[84:85], a[12:13], v[48:51]// 000000004C1C: D3D70030 1CC21954
	v_mfma_i32_16x16x32_i8 v[48:51], a[86:87], a[14:15], v[48:51]// 000000004C24: D3D70030 1CC21D56
	buffer_load_dwordx4 a[52:55], v37, s[24:27], 0 offen offset:1024// 000000004C2C: E05C1400 80863425
	buffer_load_dwordx4 a[56:59], v38, s[24:27], 0 offen       // 000000004C34: E05C1000 80863826
	buffer_load_dwordx4 a[60:63], v38, s[24:27], 0 offen offset:1024// 000000004C3C: E05C1400 80863C26
	buffer_load_dword v34, s[20:23], 0 offen lds               // 000000004C44: E0511000 80050022
	s_add_u32 m0, 0x100, s48                                   // 000000004C4C: 807C30FF 00000100
	buffer_load_dword v35, s[20:23], 0 offen lds               // 000000004C54: E0511000 80050023
	s_add_u32 m0, 0, s49                                       // 000000004C5C: 807C3180
	s_waitcnt vmcnt(8)                                         // 000000004C60: BF8C0F78
	s_barrier                                                  // 000000004C64: BF8A0000
	v_mfma_i32_16x16x32_i8 v[52:55], a[16:17], a[8:9], v[52:55]// 000000004C68: D3D70034 1CD21110
	buffer_load_dwordx4 a[64:67], v36, s[84:87], 0 offen       // 000000004C70: E05C1000 80954024
	v_mfma_i32_16x16x32_i8 v[52:55], a[18:19], a[10:11], v[52:55]// 000000004C78: D3D70034 1CD21512
	v_mfma_i32_16x16x32_i8 v[52:55], a[20:21], a[12:13], v[52:55]// 000000004C80: D3D70034 1CD21914
	ds_read_b128 a[0:3], v2 offset:4352                        // 000000004C88: DBFE1100 00000002
	ds_read_b128 a[4:7], v2 offset:4416                        // 000000004C90: DBFE1140 04000002
	v_mfma_i32_16x16x32_i8 v[52:55], a[22:23], a[14:15], v[52:55]// 000000004C98: D3D70034 1CD21D16
	v_mfma_i32_16x16x32_i8 v[56:59], a[24:25], a[8:9], v[56:59]// 000000004CA0: D3D70038 1CE21118
	buffer_load_dwordx4 a[68:71], v36, s[84:87], 0 offen offset:1024// 000000004CA8: E05C1400 80954424
	s_add_u32 s60, 0x180, s80                                  // 000000004CB0: 803C50FF 00000180
	s_cmp_lt_u32 s60, s81                                      // 000000004CB8: BF0A513C
	s_cselect_b32 s57, s57, 0                                  // 000000004CBC: 85398039
	v_mfma_i32_16x16x32_i8 v[56:59], a[26:27], a[10:11], v[56:59]// 000000004CC0: D3D70038 1CE2151A
	s_add_u32 s60, 0x100, s80                                  // 000000004CC8: 803C50FF 00000100
	s_cmp_lt_u32 s60, s81                                      // 000000004CD0: BF0A513C
	s_cselect_b32 s58, s58, 0                                  // 000000004CD4: 853A803A
	v_mfma_i32_16x16x32_i8 v[56:59], a[28:29], a[12:13], v[56:59]// 000000004CD8: D3D70038 1CE2191C
	s_add_u32 s60, 0x100, s80                                  // 000000004CE0: 803C50FF 00000100
	s_cmp_lt_u32 s60, s81                                      // 000000004CE8: BF0A513C
	s_cselect_b32 s83, s83, 0                                  // 000000004CEC: 85538053
	v_mfma_i32_16x16x32_i8 v[56:59], a[30:31], a[14:15], v[56:59]// 000000004CF0: D3D70038 1CE21D1E
	s_add_u32 s24, s58, s24                                    // 000000004CF8: 8018183A
	s_addc_u32 s25, 0, s25                                     // 000000004CFC: 82191980
	v_mfma_i32_16x16x32_i8 v[60:63], a[32:33], a[8:9], v[60:63]// 000000004D00: D3D7003C 1CF21120
	buffer_load_dwordx4 a[72:75], v37, s[84:87], 0 offen       // 000000004D08: E05C1000 80954825
	s_add_u32 s20, s57, s20                                    // 000000004D10: 80141439
	s_addc_u32 s21, 0, s21                                     // 000000004D14: 82151580
	v_mfma_i32_16x16x32_i8 v[60:63], a[34:35], a[10:11], v[60:63]// 000000004D18: D3D7003C 1CF21522
	v_mfma_i32_16x16x32_i8 v[60:63], a[36:37], a[12:13], v[60:63]// 000000004D20: D3D7003C 1CF21924
	v_mfma_i32_16x16x32_i8 v[60:63], a[38:39], a[14:15], v[60:63]// 000000004D28: D3D7003C 1CF21D26
	buffer_load_dwordx4 a[76:79], v37, s[84:87], 0 offen offset:1024// 000000004D30: E05C1400 80954C25
	buffer_load_dwordx4 a[80:83], v38, s[84:87], 0 offen       // 000000004D38: E05C1000 80955026
	buffer_load_dwordx4 a[84:87], v38, s[84:87], 0 offen offset:1024// 000000004D40: E05C1400 80955426
	s_add_u32 s84, s83, s84                                    // 000000004D48: 80545453
	s_addc_u32 s85, 0, s85                                     // 000000004D4C: 82555580
	s_addk_i32 s80, 0x80                                       // 000000004D50: B7500080
	s_cmp_lt_i32 s80, s81                                      // 000000004D54: BF045150
	s_cbranch_scc0 label_0A07                                  // 000000004D58: BF8401AD
	s_waitcnt vmcnt(8) lgkmcnt(0)                              // 000000004D5C: BF8C0078
	v_mfma_i32_16x16x32_i8 v[40:43], a[40:41], a[0:1], v[40:43]// 000000004D60: D3D70028 1CA20128
	buffer_load_dwordx4 a[16:19], v36, s[24:27], 0 offen       // 000000004D68: E05C1000 80861024
	v_mfma_i32_16x16x32_i8 v[40:43], a[42:43], a[2:3], v[40:43]// 000000004D70: D3D70028 1CA2052A
	v_mfma_i32_16x16x32_i8 v[40:43], a[44:45], a[4:5], v[40:43]// 000000004D78: D3D70028 1CA2092C
	v_mfma_i32_16x16x32_i8 v[40:43], a[46:47], a[6:7], v[40:43]// 000000004D80: D3D70028 1CA20D2E
	v_mfma_i32_16x16x32_i8 v[44:47], a[48:49], a[0:1], v[44:47]// 000000004D88: D3D7002C 1CB20130
	buffer_load_dwordx4 a[20:23], v36, s[24:27], 0 offen offset:1024// 000000004D90: E05C1400 80861424
	v_mfma_i32_16x16x32_i8 v[44:47], a[50:51], a[2:3], v[44:47]// 000000004D98: D3D7002C 1CB20532
	v_mfma_i32_16x16x32_i8 v[44:47], a[52:53], a[4:5], v[44:47]// 000000004DA0: D3D7002C 1CB20934
	v_mfma_i32_16x16x32_i8 v[44:47], a[54:55], a[6:7], v[44:47]// 000000004DA8: D3D7002C 1CB20D36
	v_mfma_i32_16x16x32_i8 v[48:51], a[56:57], a[0:1], v[48:51]// 000000004DB0: D3D70030 1CC20138
	buffer_load_dwordx4 a[24:27], v37, s[24:27], 0 offen       // 000000004DB8: E05C1000 80861825
	v_mfma_i32_16x16x32_i8 v[48:51], a[58:59], a[2:3], v[48:51]// 000000004DC0: D3D70030 1CC2053A
	v_mfma_i32_16x16x32_i8 v[48:51], a[60:61], a[4:5], v[48:51]// 000000004DC8: D3D70030 1CC2093C
	v_mfma_i32_16x16x32_i8 v[48:51], a[62:63], a[6:7], v[48:51]// 000000004DD0: D3D70030 1CC20D3E
	buffer_load_dwordx4 a[28:31], v37, s[24:27], 0 offen offset:1024// 000000004DD8: E05C1400 80861C25
	buffer_load_dwordx4 a[32:35], v38, s[24:27], 0 offen       // 000000004DE0: E05C1000 80862026
	buffer_load_dwordx4 a[36:39], v38, s[24:27], 0 offen offset:1024// 000000004DE8: E05C1400 80862426
	buffer_load_dword v34, s[20:23], 0 offen lds               // 000000004DF0: E0511000 80050022
	s_add_u32 m0, 0x100, s49                                   // 000000004DF8: 807C31FF 00000100
	buffer_load_dword v35, s[20:23], 0 offen lds               // 000000004E00: E0511000 80050023
	s_add_u32 m0, 0, s50                                       // 000000004E08: 807C3280
	s_waitcnt vmcnt(8)                                         // 000000004E0C: BF8C0F78
	s_barrier                                                  // 000000004E10: BF8A0000
	v_mfma_i32_16x16x32_i8 v[52:55], a[64:65], a[0:1], v[52:55]// 000000004E14: D3D70034 1CD20140
	buffer_load_dwordx4 a[40:43], v36, s[84:87], 0 offen       // 000000004E1C: E05C1000 80952824
	v_mfma_i32_16x16x32_i8 v[52:55], a[66:67], a[2:3], v[52:55]// 000000004E24: D3D70034 1CD20542
	v_mfma_i32_16x16x32_i8 v[52:55], a[68:69], a[4:5], v[52:55]// 000000004E2C: D3D70034 1CD20944
	ds_read_b128 a[8:11], v2                                   // 000000004E34: DBFE0000 08000002
	ds_read_b128 a[12:15], v2 offset:64                        // 000000004E3C: DBFE0040 0C000002
	v_mfma_i32_16x16x32_i8 v[52:55], a[70:71], a[6:7], v[52:55]// 000000004E44: D3D70034 1CD20D46
	v_mfma_i32_16x16x32_i8 v[56:59], a[72:73], a[0:1], v[56:59]// 000000004E4C: D3D70038 1CE20148
	buffer_load_dwordx4 a[44:47], v36, s[84:87], 0 offen offset:1024// 000000004E54: E05C1400 80952C24
	s_add_u32 s60, 0x180, s80                                  // 000000004E5C: 803C50FF 00000180
	s_cmp_lt_u32 s60, s81                                      // 000000004E64: BF0A513C
	s_cselect_b32 s57, s57, 0                                  // 000000004E68: 85398039
	v_mfma_i32_16x16x32_i8 v[56:59], a[74:75], a[2:3], v[56:59]// 000000004E6C: D3D70038 1CE2054A
	s_add_u32 s60, 0x100, s80                                  // 000000004E74: 803C50FF 00000100
	s_cmp_lt_u32 s60, s81                                      // 000000004E7C: BF0A513C
	s_cselect_b32 s58, s58, 0                                  // 000000004E80: 853A803A
	v_mfma_i32_16x16x32_i8 v[56:59], a[76:77], a[4:5], v[56:59]// 000000004E84: D3D70038 1CE2094C
	s_add_u32 s60, 0x100, s80                                  // 000000004E8C: 803C50FF 00000100
	s_cmp_lt_u32 s60, s81                                      // 000000004E94: BF0A513C
	s_cselect_b32 s83, s83, 0                                  // 000000004E98: 85538053
	v_mfma_i32_16x16x32_i8 v[56:59], a[78:79], a[6:7], v[56:59]// 000000004E9C: D3D70038 1CE20D4E
	s_add_u32 s24, s58, s24                                    // 000000004EA4: 8018183A
	s_addc_u32 s25, 0, s25                                     // 000000004EA8: 82191980
	v_mfma_i32_16x16x32_i8 v[60:63], a[80:81], a[0:1], v[60:63]// 000000004EAC: D3D7003C 1CF20150
	buffer_load_dwordx4 a[48:51], v37, s[84:87], 0 offen       // 000000004EB4: E05C1000 80953025
	s_add_u32 s20, s57, s20                                    // 000000004EBC: 80141439
	s_addc_u32 s21, 0, s21                                     // 000000004EC0: 82151580
	v_mfma_i32_16x16x32_i8 v[60:63], a[82:83], a[2:3], v[60:63]// 000000004EC4: D3D7003C 1CF20552
	v_mfma_i32_16x16x32_i8 v[60:63], a[84:85], a[4:5], v[60:63]// 000000004ECC: D3D7003C 1CF20954
	v_mfma_i32_16x16x32_i8 v[60:63], a[86:87], a[6:7], v[60:63]// 000000004ED4: D3D7003C 1CF20D56
	buffer_load_dwordx4 a[52:55], v37, s[84:87], 0 offen offset:1024// 000000004EDC: E05C1400 80953425
	buffer_load_dwordx4 a[56:59], v38, s[84:87], 0 offen       // 000000004EE4: E05C1000 80953826
	buffer_load_dwordx4 a[60:63], v38, s[84:87], 0 offen offset:1024// 000000004EEC: E05C1400 80953C26
	s_add_u32 s84, s83, s84                                    // 000000004EF4: 80545453
	s_addc_u32 s85, 0, s85                                     // 000000004EF8: 82555580
	s_addk_i32 s80, 0x80                                       // 000000004EFC: B7500080
	s_cmp_lt_i32 s80, s81                                      // 000000004F00: BF045150
	s_cbranch_scc0 label_0A07                                  // 000000004F04: BF840142
	s_waitcnt vmcnt(8) lgkmcnt(0)                              // 000000004F08: BF8C0078
	v_mfma_i32_16x16x32_i8 v[40:43], a[16:17], a[8:9], v[40:43]// 000000004F0C: D3D70028 1CA21110
	buffer_load_dwordx4 a[64:67], v36, s[24:27], 0 offen       // 000000004F14: E05C1000 80864024
	v_mfma_i32_16x16x32_i8 v[40:43], a[18:19], a[10:11], v[40:43]// 000000004F1C: D3D70028 1CA21512
	v_mfma_i32_16x16x32_i8 v[40:43], a[20:21], a[12:13], v[40:43]// 000000004F24: D3D70028 1CA21914
	v_mfma_i32_16x16x32_i8 v[40:43], a[22:23], a[14:15], v[40:43]// 000000004F2C: D3D70028 1CA21D16
	v_mfma_i32_16x16x32_i8 v[44:47], a[24:25], a[8:9], v[44:47]// 000000004F34: D3D7002C 1CB21118
	buffer_load_dwordx4 a[68:71], v36, s[24:27], 0 offen offset:1024// 000000004F3C: E05C1400 80864424
	v_mfma_i32_16x16x32_i8 v[44:47], a[26:27], a[10:11], v[44:47]// 000000004F44: D3D7002C 1CB2151A
	v_mfma_i32_16x16x32_i8 v[44:47], a[28:29], a[12:13], v[44:47]// 000000004F4C: D3D7002C 1CB2191C
	v_mfma_i32_16x16x32_i8 v[44:47], a[30:31], a[14:15], v[44:47]// 000000004F54: D3D7002C 1CB21D1E
	v_mfma_i32_16x16x32_i8 v[48:51], a[32:33], a[8:9], v[48:51]// 000000004F5C: D3D70030 1CC21120
	buffer_load_dwordx4 a[72:75], v37, s[24:27], 0 offen       // 000000004F64: E05C1000 80864825
	v_mfma_i32_16x16x32_i8 v[48:51], a[34:35], a[10:11], v[48:51]// 000000004F6C: D3D70030 1CC21522
	v_mfma_i32_16x16x32_i8 v[48:51], a[36:37], a[12:13], v[48:51]// 000000004F74: D3D70030 1CC21924
	v_mfma_i32_16x16x32_i8 v[48:51], a[38:39], a[14:15], v[48:51]// 000000004F7C: D3D70030 1CC21D26
	buffer_load_dwordx4 a[76:79], v37, s[24:27], 0 offen offset:1024// 000000004F84: E05C1400 80864C25
	buffer_load_dwordx4 a[80:83], v38, s[24:27], 0 offen       // 000000004F8C: E05C1000 80865026
	buffer_load_dwordx4 a[84:87], v38, s[24:27], 0 offen offset:1024// 000000004F94: E05C1400 80865426
	buffer_load_dword v34, s[20:23], 0 offen lds               // 000000004F9C: E0511000 80050022
	s_add_u32 m0, 0x100, s50                                   // 000000004FA4: 807C32FF 00000100
	buffer_load_dword v35, s[20:23], 0 offen lds               // 000000004FAC: E0511000 80050023
	s_add_u32 m0, 0, s48                                       // 000000004FB4: 807C3080
	s_waitcnt vmcnt(8)                                         // 000000004FB8: BF8C0F78
	s_barrier                                                  // 000000004FBC: BF8A0000
	v_mfma_i32_16x16x32_i8 v[52:55], a[40:41], a[8:9], v[52:55]// 000000004FC0: D3D70034 1CD21128
	buffer_load_dwordx4 a[16:19], v36, s[84:87], 0 offen       // 000000004FC8: E05C1000 80951024
	v_mfma_i32_16x16x32_i8 v[52:55], a[42:43], a[10:11], v[52:55]// 000000004FD0: D3D70034 1CD2152A
	v_mfma_i32_16x16x32_i8 v[52:55], a[44:45], a[12:13], v[52:55]// 000000004FD8: D3D70034 1CD2192C
	ds_read_b128 a[0:3], v2 offset:2176                        // 000000004FE0: DBFE0880 00000002
	ds_read_b128 a[4:7], v2 offset:2240                        // 000000004FE8: DBFE08C0 04000002
	v_mfma_i32_16x16x32_i8 v[52:55], a[46:47], a[14:15], v[52:55]// 000000004FF0: D3D70034 1CD21D2E
	v_mfma_i32_16x16x32_i8 v[56:59], a[48:49], a[8:9], v[56:59]// 000000004FF8: D3D70038 1CE21130
	buffer_load_dwordx4 a[20:23], v36, s[84:87], 0 offen offset:1024// 000000005000: E05C1400 80951424
	s_add_u32 s60, 0x180, s80                                  // 000000005008: 803C50FF 00000180
	s_cmp_lt_u32 s60, s81                                      // 000000005010: BF0A513C
	s_cselect_b32 s57, s57, 0                                  // 000000005014: 85398039
	v_mfma_i32_16x16x32_i8 v[56:59], a[50:51], a[10:11], v[56:59]// 000000005018: D3D70038 1CE21532
	s_add_u32 s60, 0x100, s80                                  // 000000005020: 803C50FF 00000100
	s_cmp_lt_u32 s60, s81                                      // 000000005028: BF0A513C
	s_cselect_b32 s58, s58, 0                                  // 00000000502C: 853A803A
	v_mfma_i32_16x16x32_i8 v[56:59], a[52:53], a[12:13], v[56:59]// 000000005030: D3D70038 1CE21934
	s_add_u32 s60, 0x100, s80                                  // 000000005038: 803C50FF 00000100
	s_cmp_lt_u32 s60, s81                                      // 000000005040: BF0A513C
	s_cselect_b32 s83, s83, 0                                  // 000000005044: 85538053
	v_mfma_i32_16x16x32_i8 v[56:59], a[54:55], a[14:15], v[56:59]// 000000005048: D3D70038 1CE21D36
	s_add_u32 s24, s58, s24                                    // 000000005050: 8018183A
	s_addc_u32 s25, 0, s25                                     // 000000005054: 82191980
	v_mfma_i32_16x16x32_i8 v[60:63], a[56:57], a[8:9], v[60:63]// 000000005058: D3D7003C 1CF21138
	buffer_load_dwordx4 a[24:27], v37, s[84:87], 0 offen       // 000000005060: E05C1000 80951825
	s_add_u32 s20, s57, s20                                    // 000000005068: 80141439
	s_addc_u32 s21, 0, s21                                     // 00000000506C: 82151580
	v_mfma_i32_16x16x32_i8 v[60:63], a[58:59], a[10:11], v[60:63]// 000000005070: D3D7003C 1CF2153A
	v_mfma_i32_16x16x32_i8 v[60:63], a[60:61], a[12:13], v[60:63]// 000000005078: D3D7003C 1CF2193C
	v_mfma_i32_16x16x32_i8 v[60:63], a[62:63], a[14:15], v[60:63]// 000000005080: D3D7003C 1CF21D3E
	buffer_load_dwordx4 a[28:31], v37, s[84:87], 0 offen offset:1024// 000000005088: E05C1400 80951C25
	buffer_load_dwordx4 a[32:35], v38, s[84:87], 0 offen       // 000000005090: E05C1000 80952026
	buffer_load_dwordx4 a[36:39], v38, s[84:87], 0 offen offset:1024// 000000005098: E05C1400 80952426
	s_add_u32 s84, s83, s84                                    // 0000000050A0: 80545453
	s_addc_u32 s85, 0, s85                                     // 0000000050A4: 82555580
	s_addk_i32 s80, 0x80                                       // 0000000050A8: B7500080
	s_cmp_lt_i32 s80, s81                                      // 0000000050AC: BF045150
	s_cbranch_scc0 label_0A07                                  // 0000000050B0: BF8400D7
	s_waitcnt vmcnt(8) lgkmcnt(0)                              // 0000000050B4: BF8C0078
	v_mfma_i32_16x16x32_i8 v[40:43], a[64:65], a[0:1], v[40:43]// 0000000050B8: D3D70028 1CA20140
	buffer_load_dwordx4 a[40:43], v36, s[24:27], 0 offen       // 0000000050C0: E05C1000 80862824
	v_mfma_i32_16x16x32_i8 v[40:43], a[66:67], a[2:3], v[40:43]// 0000000050C8: D3D70028 1CA20542
	v_mfma_i32_16x16x32_i8 v[40:43], a[68:69], a[4:5], v[40:43]// 0000000050D0: D3D70028 1CA20944
	v_mfma_i32_16x16x32_i8 v[40:43], a[70:71], a[6:7], v[40:43]// 0000000050D8: D3D70028 1CA20D46
	v_mfma_i32_16x16x32_i8 v[44:47], a[72:73], a[0:1], v[44:47]// 0000000050E0: D3D7002C 1CB20148
	buffer_load_dwordx4 a[44:47], v36, s[24:27], 0 offen offset:1024// 0000000050E8: E05C1400 80862C24
	v_mfma_i32_16x16x32_i8 v[44:47], a[74:75], a[2:3], v[44:47]// 0000000050F0: D3D7002C 1CB2054A
	v_mfma_i32_16x16x32_i8 v[44:47], a[76:77], a[4:5], v[44:47]// 0000000050F8: D3D7002C 1CB2094C
	v_mfma_i32_16x16x32_i8 v[44:47], a[78:79], a[6:7], v[44:47]// 000000005100: D3D7002C 1CB20D4E
	v_mfma_i32_16x16x32_i8 v[48:51], a[80:81], a[0:1], v[48:51]// 000000005108: D3D70030 1CC20150
	buffer_load_dwordx4 a[48:51], v37, s[24:27], 0 offen       // 000000005110: E05C1000 80863025
	v_mfma_i32_16x16x32_i8 v[48:51], a[82:83], a[2:3], v[48:51]// 000000005118: D3D70030 1CC20552
	v_mfma_i32_16x16x32_i8 v[48:51], a[84:85], a[4:5], v[48:51]// 000000005120: D3D70030 1CC20954
	v_mfma_i32_16x16x32_i8 v[48:51], a[86:87], a[6:7], v[48:51]// 000000005128: D3D70030 1CC20D56
	buffer_load_dwordx4 a[52:55], v37, s[24:27], 0 offen offset:1024// 000000005130: E05C1400 80863425
	buffer_load_dwordx4 a[56:59], v38, s[24:27], 0 offen       // 000000005138: E05C1000 80863826
	buffer_load_dwordx4 a[60:63], v38, s[24:27], 0 offen offset:1024// 000000005140: E05C1400 80863C26
	buffer_load_dword v34, s[20:23], 0 offen lds               // 000000005148: E0511000 80050022
	s_add_u32 m0, 0x100, s48                                   // 000000005150: 807C30FF 00000100
	buffer_load_dword v35, s[20:23], 0 offen lds               // 000000005158: E0511000 80050023
	s_add_u32 m0, 0, s49                                       // 000000005160: 807C3180
	s_waitcnt vmcnt(8)                                         // 000000005164: BF8C0F78
	s_barrier                                                  // 000000005168: BF8A0000
	v_mfma_i32_16x16x32_i8 v[52:55], a[16:17], a[0:1], v[52:55]// 00000000516C: D3D70034 1CD20110
	buffer_load_dwordx4 a[64:67], v36, s[84:87], 0 offen       // 000000005174: E05C1000 80954024
	v_mfma_i32_16x16x32_i8 v[52:55], a[18:19], a[2:3], v[52:55]// 00000000517C: D3D70034 1CD20512
	v_mfma_i32_16x16x32_i8 v[52:55], a[20:21], a[4:5], v[52:55]// 000000005184: D3D70034 1CD20914
	ds_read_b128 a[8:11], v2 offset:4352                       // 00000000518C: DBFE1100 08000002
	ds_read_b128 a[12:15], v2 offset:4416                      // 000000005194: DBFE1140 0C000002
	v_mfma_i32_16x16x32_i8 v[52:55], a[22:23], a[6:7], v[52:55]// 00000000519C: D3D70034 1CD20D16
	v_mfma_i32_16x16x32_i8 v[56:59], a[24:25], a[0:1], v[56:59]// 0000000051A4: D3D70038 1CE20118
	buffer_load_dwordx4 a[68:71], v36, s[84:87], 0 offen offset:1024// 0000000051AC: E05C1400 80954424
	s_add_u32 s60, 0x180, s80                                  // 0000000051B4: 803C50FF 00000180
	s_cmp_lt_u32 s60, s81                                      // 0000000051BC: BF0A513C
	s_cselect_b32 s57, s57, 0                                  // 0000000051C0: 85398039
	v_mfma_i32_16x16x32_i8 v[56:59], a[26:27], a[2:3], v[56:59]// 0000000051C4: D3D70038 1CE2051A
	s_add_u32 s60, 0x100, s80                                  // 0000000051CC: 803C50FF 00000100
	s_cmp_lt_u32 s60, s81                                      // 0000000051D4: BF0A513C
	s_cselect_b32 s58, s58, 0                                  // 0000000051D8: 853A803A
	v_mfma_i32_16x16x32_i8 v[56:59], a[28:29], a[4:5], v[56:59]// 0000000051DC: D3D70038 1CE2091C
	s_add_u32 s60, 0x100, s80                                  // 0000000051E4: 803C50FF 00000100
	s_cmp_lt_u32 s60, s81                                      // 0000000051EC: BF0A513C
	s_cselect_b32 s83, s83, 0                                  // 0000000051F0: 85538053
	v_mfma_i32_16x16x32_i8 v[56:59], a[30:31], a[6:7], v[56:59]// 0000000051F4: D3D70038 1CE20D1E
	s_add_u32 s24, s58, s24                                    // 0000000051FC: 8018183A
	s_addc_u32 s25, 0, s25                                     // 000000005200: 82191980
	v_mfma_i32_16x16x32_i8 v[60:63], a[32:33], a[0:1], v[60:63]// 000000005204: D3D7003C 1CF20120
	buffer_load_dwordx4 a[72:75], v37, s[84:87], 0 offen       // 00000000520C: E05C1000 80954825
	s_add_u32 s20, s57, s20                                    // 000000005214: 80141439
	s_addc_u32 s21, 0, s21                                     // 000000005218: 82151580
	v_mfma_i32_16x16x32_i8 v[60:63], a[34:35], a[2:3], v[60:63]// 00000000521C: D3D7003C 1CF20522
	v_mfma_i32_16x16x32_i8 v[60:63], a[36:37], a[4:5], v[60:63]// 000000005224: D3D7003C 1CF20924
	v_mfma_i32_16x16x32_i8 v[60:63], a[38:39], a[6:7], v[60:63]// 00000000522C: D3D7003C 1CF20D26
	buffer_load_dwordx4 a[76:79], v37, s[84:87], 0 offen offset:1024// 000000005234: E05C1400 80954C25
	buffer_load_dwordx4 a[80:83], v38, s[84:87], 0 offen       // 00000000523C: E05C1000 80955026
	buffer_load_dwordx4 a[84:87], v38, s[84:87], 0 offen offset:1024// 000000005244: E05C1400 80955426
	s_add_u32 s84, s83, s84                                    // 00000000524C: 80545453
	s_addc_u32 s85, 0, s85                                     // 000000005250: 82555580
	s_addk_i32 s80, 0x80                                       // 000000005254: B7500080
	s_cmp_lt_i32 s80, s81                                      // 000000005258: BF045150
	s_cbranch_scc0 label_0A07                                  // 00000000525C: BF84006C
	s_waitcnt vmcnt(8) lgkmcnt(0)                              // 000000005260: BF8C0078
	v_mfma_i32_16x16x32_i8 v[40:43], a[40:41], a[8:9], v[40:43]// 000000005264: D3D70028 1CA21128
	buffer_load_dwordx4 a[16:19], v36, s[24:27], 0 offen       // 00000000526C: E05C1000 80861024
	v_mfma_i32_16x16x32_i8 v[40:43], a[42:43], a[10:11], v[40:43]// 000000005274: D3D70028 1CA2152A
	v_mfma_i32_16x16x32_i8 v[40:43], a[44:45], a[12:13], v[40:43]// 00000000527C: D3D70028 1CA2192C
	v_mfma_i32_16x16x32_i8 v[40:43], a[46:47], a[14:15], v[40:43]// 000000005284: D3D70028 1CA21D2E
	v_mfma_i32_16x16x32_i8 v[44:47], a[48:49], a[8:9], v[44:47]// 00000000528C: D3D7002C 1CB21130
	buffer_load_dwordx4 a[20:23], v36, s[24:27], 0 offen offset:1024// 000000005294: E05C1400 80861424
	v_mfma_i32_16x16x32_i8 v[44:47], a[50:51], a[10:11], v[44:47]// 00000000529C: D3D7002C 1CB21532
	v_mfma_i32_16x16x32_i8 v[44:47], a[52:53], a[12:13], v[44:47]// 0000000052A4: D3D7002C 1CB21934
	v_mfma_i32_16x16x32_i8 v[44:47], a[54:55], a[14:15], v[44:47]// 0000000052AC: D3D7002C 1CB21D36
	v_mfma_i32_16x16x32_i8 v[48:51], a[56:57], a[8:9], v[48:51]// 0000000052B4: D3D70030 1CC21138
	buffer_load_dwordx4 a[24:27], v37, s[24:27], 0 offen       // 0000000052BC: E05C1000 80861825
	v_mfma_i32_16x16x32_i8 v[48:51], a[58:59], a[10:11], v[48:51]// 0000000052C4: D3D70030 1CC2153A
	v_mfma_i32_16x16x32_i8 v[48:51], a[60:61], a[12:13], v[48:51]// 0000000052CC: D3D70030 1CC2193C
	v_mfma_i32_16x16x32_i8 v[48:51], a[62:63], a[14:15], v[48:51]// 0000000052D4: D3D70030 1CC21D3E
	buffer_load_dwordx4 a[28:31], v37, s[24:27], 0 offen offset:1024// 0000000052DC: E05C1400 80861C25
	buffer_load_dwordx4 a[32:35], v38, s[24:27], 0 offen       // 0000000052E4: E05C1000 80862026
	buffer_load_dwordx4 a[36:39], v38, s[24:27], 0 offen offset:1024// 0000000052EC: E05C1400 80862426
	buffer_load_dword v34, s[20:23], 0 offen lds               // 0000000052F4: E0511000 80050022
	s_add_u32 m0, 0x100, s49                                   // 0000000052FC: 807C31FF 00000100
	buffer_load_dword v35, s[20:23], 0 offen lds               // 000000005304: E0511000 80050023
	s_add_u32 m0, 0, s50                                       // 00000000530C: 807C3280
	s_waitcnt vmcnt(8)                                         // 000000005310: BF8C0F78
	s_barrier                                                  // 000000005314: BF8A0000
	v_mfma_i32_16x16x32_i8 v[52:55], a[64:65], a[8:9], v[52:55]// 000000005318: D3D70034 1CD21140
	buffer_load_dwordx4 a[40:43], v36, s[84:87], 0 offen       // 000000005320: E05C1000 80952824
	v_mfma_i32_16x16x32_i8 v[52:55], a[66:67], a[10:11], v[52:55]// 000000005328: D3D70034 1CD21542
	v_mfma_i32_16x16x32_i8 v[52:55], a[68:69], a[12:13], v[52:55]// 000000005330: D3D70034 1CD21944
	ds_read_b128 a[0:3], v2                                    // 000000005338: DBFE0000 00000002
	ds_read_b128 a[4:7], v2 offset:64                          // 000000005340: DBFE0040 04000002
	v_mfma_i32_16x16x32_i8 v[52:55], a[70:71], a[14:15], v[52:55]// 000000005348: D3D70034 1CD21D46
	v_mfma_i32_16x16x32_i8 v[56:59], a[72:73], a[8:9], v[56:59]// 000000005350: D3D70038 1CE21148
	buffer_load_dwordx4 a[44:47], v36, s[84:87], 0 offen offset:1024// 000000005358: E05C1400 80952C24
	s_add_u32 s60, 0x180, s80                                  // 000000005360: 803C50FF 00000180
	s_cmp_lt_u32 s60, s81                                      // 000000005368: BF0A513C
	s_cselect_b32 s57, s57, 0                                  // 00000000536C: 85398039
	v_mfma_i32_16x16x32_i8 v[56:59], a[74:75], a[10:11], v[56:59]// 000000005370: D3D70038 1CE2154A
	s_add_u32 s60, 0x100, s80                                  // 000000005378: 803C50FF 00000100
	s_cmp_lt_u32 s60, s81                                      // 000000005380: BF0A513C
	s_cselect_b32 s58, s58, 0                                  // 000000005384: 853A803A
	v_mfma_i32_16x16x32_i8 v[56:59], a[76:77], a[12:13], v[56:59]// 000000005388: D3D70038 1CE2194C
	s_add_u32 s60, 0x100, s80                                  // 000000005390: 803C50FF 00000100
	s_cmp_lt_u32 s60, s81                                      // 000000005398: BF0A513C
	s_cselect_b32 s83, s83, 0                                  // 00000000539C: 85538053
	v_mfma_i32_16x16x32_i8 v[56:59], a[78:79], a[14:15], v[56:59]// 0000000053A0: D3D70038 1CE21D4E
	s_add_u32 s24, s58, s24                                    // 0000000053A8: 8018183A
	s_addc_u32 s25, 0, s25                                     // 0000000053AC: 82191980
	v_mfma_i32_16x16x32_i8 v[60:63], a[80:81], a[8:9], v[60:63]// 0000000053B0: D3D7003C 1CF21150
	buffer_load_dwordx4 a[48:51], v37, s[84:87], 0 offen       // 0000000053B8: E05C1000 80953025
	s_add_u32 s20, s57, s20                                    // 0000000053C0: 80141439
	s_addc_u32 s21, 0, s21                                     // 0000000053C4: 82151580
	v_mfma_i32_16x16x32_i8 v[60:63], a[82:83], a[10:11], v[60:63]// 0000000053C8: D3D7003C 1CF21552
	v_mfma_i32_16x16x32_i8 v[60:63], a[84:85], a[12:13], v[60:63]// 0000000053D0: D3D7003C 1CF21954
	v_mfma_i32_16x16x32_i8 v[60:63], a[86:87], a[14:15], v[60:63]// 0000000053D8: D3D7003C 1CF21D56
	buffer_load_dwordx4 a[52:55], v37, s[84:87], 0 offen offset:1024// 0000000053E0: E05C1400 80953425
	buffer_load_dwordx4 a[56:59], v38, s[84:87], 0 offen       // 0000000053E8: E05C1000 80953826
	buffer_load_dwordx4 a[60:63], v38, s[84:87], 0 offen offset:1024// 0000000053F0: E05C1400 80953C26
	s_add_u32 s84, s83, s84                                    // 0000000053F8: 80545453
	s_addc_u32 s85, 0, s85                                     // 0000000053FC: 82555580
	s_addk_i32 s80, 0x80                                       // 000000005400: B7500080
	s_cmp_lt_i32 s80, s81                                      // 000000005404: BF045150
	s_cbranch_scc0 label_0A07                                  // 000000005408: BF840001
	s_branch label_0784                                        // 00000000540C: BF82FD7D

0000000000005410 <label_0A07>:
	v_cvt_f32_i32_e32 v40, v40                                 // 000000005410: 7E500B28
	v_cvt_f32_i32_e32 v41, v41                                 // 000000005414: 7E520B29
	v_cvt_f32_i32_e32 v42, v42                                 // 000000005418: 7E540B2A
	v_cvt_f32_i32_e32 v43, v43                                 // 00000000541C: 7E560B2B
	v_mul_f32_dpp v40, v24, v40 row_newbcast:0 row_mask:0xf bank_mask:0xf// 000000005420: 0A5050FA FF015018
	v_mul_f32_dpp v41, v24, v41 row_newbcast:1 row_mask:0xf bank_mask:0xf// 000000005428: 0A5252FA FF015118
	v_mul_f32_dpp v42, v24, v42 row_newbcast:2 row_mask:0xf bank_mask:0xf// 000000005430: 0A5454FA FF015218
	v_mul_f32_dpp v43, v24, v43 row_newbcast:3 row_mask:0xf bank_mask:0xf// 000000005438: 0A5656FA FF015318
	v_cvt_f32_i32_e32 v44, v44                                 // 000000005440: 7E580B2C
	v_cvt_f32_i32_e32 v45, v45                                 // 000000005444: 7E5A0B2D
	v_cvt_f32_i32_e32 v46, v46                                 // 000000005448: 7E5C0B2E
	v_cvt_f32_i32_e32 v47, v47                                 // 00000000544C: 7E5E0B2F
	v_mul_f32_dpp v44, v24, v44 row_newbcast:4 row_mask:0xf bank_mask:0xf// 000000005450: 0A5858FA FF015418
	v_mul_f32_dpp v45, v24, v45 row_newbcast:5 row_mask:0xf bank_mask:0xf// 000000005458: 0A5A5AFA FF015518
	v_mul_f32_dpp v46, v24, v46 row_newbcast:6 row_mask:0xf bank_mask:0xf// 000000005460: 0A5C5CFA FF015618
	v_mul_f32_dpp v47, v24, v47 row_newbcast:7 row_mask:0xf bank_mask:0xf// 000000005468: 0A5E5EFA FF015718
	v_cvt_f32_i32_e32 v48, v48                                 // 000000005470: 7E600B30
	v_cvt_f32_i32_e32 v49, v49                                 // 000000005474: 7E620B31
	v_cvt_f32_i32_e32 v50, v50                                 // 000000005478: 7E640B32
	v_cvt_f32_i32_e32 v51, v51                                 // 00000000547C: 7E660B33
	v_mul_f32_dpp v48, v24, v48 row_newbcast:8 row_mask:0xf bank_mask:0xf// 000000005480: 0A6060FA FF015818
	v_mul_f32_dpp v49, v24, v49 row_newbcast:9 row_mask:0xf bank_mask:0xf// 000000005488: 0A6262FA FF015918
	v_mul_f32_dpp v50, v24, v50 row_newbcast:10 row_mask:0xf bank_mask:0xf// 000000005490: 0A6464FA FF015A18
	v_mul_f32_dpp v51, v24, v51 row_newbcast:11 row_mask:0xf bank_mask:0xf// 000000005498: 0A6666FA FF015B18
	v_cvt_f32_i32_e32 v52, v52                                 // 0000000054A0: 7E680B34
	v_cvt_f32_i32_e32 v53, v53                                 // 0000000054A4: 7E6A0B35
	v_cvt_f32_i32_e32 v54, v54                                 // 0000000054A8: 7E6C0B36
	v_cvt_f32_i32_e32 v55, v55                                 // 0000000054AC: 7E6E0B37
	v_mul_f32_dpp v52, v27, v52 row_newbcast:0 row_mask:0xf bank_mask:0xf// 0000000054B0: 0A6868FA FF01501B
	v_mul_f32_dpp v53, v27, v53 row_newbcast:1 row_mask:0xf bank_mask:0xf// 0000000054B8: 0A6A6AFA FF01511B
	v_mul_f32_dpp v54, v27, v54 row_newbcast:2 row_mask:0xf bank_mask:0xf// 0000000054C0: 0A6C6CFA FF01521B
	v_mul_f32_dpp v55, v27, v55 row_newbcast:3 row_mask:0xf bank_mask:0xf// 0000000054C8: 0A6E6EFA FF01531B
	v_cvt_f32_i32_e32 v56, v56                                 // 0000000054D0: 7E700B38
	v_cvt_f32_i32_e32 v57, v57                                 // 0000000054D4: 7E720B39
	v_cvt_f32_i32_e32 v58, v58                                 // 0000000054D8: 7E740B3A
	v_cvt_f32_i32_e32 v59, v59                                 // 0000000054DC: 7E760B3B
	v_mul_f32_dpp v56, v27, v56 row_newbcast:4 row_mask:0xf bank_mask:0xf// 0000000054E0: 0A7070FA FF01541B
	v_mul_f32_dpp v57, v27, v57 row_newbcast:5 row_mask:0xf bank_mask:0xf// 0000000054E8: 0A7272FA FF01551B
	v_mul_f32_dpp v58, v27, v58 row_newbcast:6 row_mask:0xf bank_mask:0xf// 0000000054F0: 0A7474FA FF01561B
	v_mul_f32_dpp v59, v27, v59 row_newbcast:7 row_mask:0xf bank_mask:0xf// 0000000054F8: 0A7676FA FF01571B
	v_cvt_f32_i32_e32 v60, v60                                 // 000000005500: 7E780B3C
	v_cvt_f32_i32_e32 v61, v61                                 // 000000005504: 7E7A0B3D
	v_cvt_f32_i32_e32 v62, v62                                 // 000000005508: 7E7C0B3E
	v_cvt_f32_i32_e32 v63, v63                                 // 00000000550C: 7E7E0B3F
	v_mul_f32_dpp v60, v27, v60 row_newbcast:8 row_mask:0xf bank_mask:0xf// 000000005510: 0A7878FA FF01581B
	v_mul_f32_dpp v61, v27, v61 row_newbcast:9 row_mask:0xf bank_mask:0xf// 000000005518: 0A7A7AFA FF01591B
	v_mul_f32_dpp v62, v27, v62 row_newbcast:10 row_mask:0xf bank_mask:0xf// 000000005520: 0A7C7CFA FF015A1B
	v_mul_f32_dpp v63, v27, v63 row_newbcast:11 row_mask:0xf bank_mask:0xf// 000000005528: 0A7E7EFA FF015B1B
	v_mov_b32_e32 v4, v31                                      // 000000005530: 7E08031F
	v_mov_b32_e32 v5, v4                                       // 000000005534: 7E0A0304
	v_pk_mul_f32 v[40:41], v[4:5], v[40:41]                    // 000000005538: D3B14028 18025104
	v_pk_mul_f32 v[52:53], v[4:5], v[52:53]                    // 000000005540: D3B14034 18026904
	v_pk_mul_f32 v[42:43], v[4:5], v[42:43]                    // 000000005548: D3B1402A 18025504
	v_pk_mul_f32 v[54:55], v[4:5], v[54:55]                    // 000000005550: D3B14036 18026D04
	v_pk_mul_f32 v[44:45], v[4:5], v[44:45]                    // 000000005558: D3B1402C 18025904
	v_pk_mul_f32 v[56:57], v[4:5], v[56:57]                    // 000000005560: D3B14038 18027104
	v_pk_mul_f32 v[46:47], v[4:5], v[46:47]                    // 000000005568: D3B1402E 18025D04
	v_pk_mul_f32 v[58:59], v[4:5], v[58:59]                    // 000000005570: D3B1403A 18027504
	v_pk_mul_f32 v[48:49], v[4:5], v[48:49]                    // 000000005578: D3B14030 18026104
	v_pk_mul_f32 v[60:61], v[4:5], v[60:61]                    // 000000005580: D3B1403C 18027904
	v_pk_mul_f32 v[50:51], v[4:5], v[50:51]                    // 000000005588: D3B14032 18026504
	v_pk_mul_f32 v[62:63], v[4:5], v[62:63]                    // 000000005590: D3B1403E 18027D04
	s_cmp_eq_u32 s88, 0                                        // 000000005598: BF068058
	s_cbranch_scc0 label_0C22                                  // 00000000559C: BF8401B7
	s_cmp_eq_u32 s89, 0                                        // 0000000055A0: BF068059
	s_cbranch_scc1 label_0AEA                                  // 0000000055A4: BF85007D
	v_mov_b32_e32 v8, v1                                       // 0000000055A8: 7E100301
	v_mov_b32_e32 v9, v1                                       // 0000000055AC: 7E120301
	s_mov_b32 s60, s6                                          // 0000000055B0: BEBC0006
	s_mov_b32 s61, s6                                          // 0000000055B4: BEBD0006
	v_pk_mul_f32 v[4:5], v[40:41], v[40:41]                    // 0000000055B8: D3B14004 18025128
	v_pk_mul_f32 v[6:7], v[42:43], v[42:43]                    // 0000000055C0: D3B14006 1802552A
	v_pk_fma_f32 v[4:5], v[4:5], s[78:79], v[8:9]              // 0000000055C8: D3B04004 1C209D04
	v_pk_fma_f32 v[6:7], v[6:7], s[78:79], v[8:9]              // 0000000055D0: D3B04006 1C209D06
	v_pk_mul_f32 v[4:5], v[4:5], v[40:41]                      // 0000000055D8: D3B14004 18025104
	v_pk_mul_f32 v[6:7], v[6:7], v[42:43]                      // 0000000055E0: D3B14006 18025506
	v_pk_mul_f32 v[4:5], v[4:5], s[60:61]                      // 0000000055E8: D3B14004 18007904
	v_pk_mul_f32 v[6:7], v[6:7], s[60:61]                      // 0000000055F0: D3B14006 18007906
	v_exp_f32_e32 v4, v4                                       // 0000000055F8: 7E084104
	v_exp_f32_e32 v5, v5                                       // 0000000055FC: 7E0A4105
	v_exp_f32_e32 v6, v6                                       // 000000005600: 7E0C4106
	v_exp_f32_e32 v7, v7                                       // 000000005604: 7E0E4107
	v_add_f32_e64 v4, v4, 1.0                                  // 000000005608: D1010004 0001E504
	v_add_f32_e64 v5, v5, 1.0                                  // 000000005610: D1010005 0001E505
	v_add_f32_e64 v6, v6, 1.0                                  // 000000005618: D1010006 0001E506
	v_add_f32_e64 v7, v7, 1.0                                  // 000000005620: D1010007 0001E507
	v_rcp_f32_e32 v4, v4                                       // 000000005628: 7E084504
	v_rcp_f32_e32 v5, v5                                       // 00000000562C: 7E0A4505
	v_rcp_f32_e32 v6, v6                                       // 000000005630: 7E0C4506
	v_rcp_f32_e32 v7, v7                                       // 000000005634: 7E0E4507
	v_mul_f32_e32 v40, v40, v4                                 // 000000005638: 0A500928
	v_mul_f32_e32 v41, v41, v5                                 // 00000000563C: 0A520B29
	v_mul_f32_e32 v42, v42, v6                                 // 000000005640: 0A540D2A
	v_mul_f32_e32 v43, v43, v7                                 // 000000005644: 0A560F2B
	v_mul_f32_e32 v40, v40, v52                                // 000000005648: 0A506928
	v_mul_f32_e32 v41, v41, v53                                // 00000000564C: 0A526B29
	v_mul_f32_e32 v42, v42, v54                                // 000000005650: 0A546D2A
	v_mul_f32_e32 v43, v43, v55                                // 000000005654: 0A566F2B
	v_pk_mul_f32 v[4:5], v[44:45], v[44:45]                    // 000000005658: D3B14004 1802592C
	v_pk_mul_f32 v[6:7], v[46:47], v[46:47]                    // 000000005660: D3B14006 18025D2E
	v_pk_fma_f32 v[4:5], v[4:5], s[78:79], v[8:9]              // 000000005668: D3B04004 1C209D04
	v_pk_fma_f32 v[6:7], v[6:7], s[78:79], v[8:9]              // 000000005670: D3B04006 1C209D06
	v_pk_mul_f32 v[4:5], v[4:5], v[44:45]                      // 000000005678: D3B14004 18025904
	v_pk_mul_f32 v[6:7], v[6:7], v[46:47]                      // 000000005680: D3B14006 18025D06
	v_pk_mul_f32 v[4:5], v[4:5], s[60:61]                      // 000000005688: D3B14004 18007904
	v_pk_mul_f32 v[6:7], v[6:7], s[60:61]                      // 000000005690: D3B14006 18007906
	v_exp_f32_e32 v4, v4                                       // 000000005698: 7E084104
	v_exp_f32_e32 v5, v5                                       // 00000000569C: 7E0A4105
	v_exp_f32_e32 v6, v6                                       // 0000000056A0: 7E0C4106
	v_exp_f32_e32 v7, v7                                       // 0000000056A4: 7E0E4107
	v_add_f32_e64 v4, v4, 1.0                                  // 0000000056A8: D1010004 0001E504
	v_add_f32_e64 v5, v5, 1.0                                  // 0000000056B0: D1010005 0001E505
	v_add_f32_e64 v6, v6, 1.0                                  // 0000000056B8: D1010006 0001E506
	v_add_f32_e64 v7, v7, 1.0                                  // 0000000056C0: D1010007 0001E507
	v_rcp_f32_e32 v4, v4                                       // 0000000056C8: 7E084504
	v_rcp_f32_e32 v5, v5                                       // 0000000056CC: 7E0A4505
	v_rcp_f32_e32 v6, v6                                       // 0000000056D0: 7E0C4506
	v_rcp_f32_e32 v7, v7                                       // 0000000056D4: 7E0E4507
	v_mul_f32_e32 v44, v44, v4                                 // 0000000056D8: 0A58092C
	v_mul_f32_e32 v45, v45, v5                                 // 0000000056DC: 0A5A0B2D
	v_mul_f32_e32 v46, v46, v6                                 // 0000000056E0: 0A5C0D2E
	v_mul_f32_e32 v47, v47, v7                                 // 0000000056E4: 0A5E0F2F
	v_mul_f32_e32 v44, v44, v56                                // 0000000056E8: 0A58712C
	v_mul_f32_e32 v45, v45, v57                                // 0000000056EC: 0A5A732D
	v_mul_f32_e32 v46, v46, v58                                // 0000000056F0: 0A5C752E
	v_mul_f32_e32 v47, v47, v59                                // 0000000056F4: 0A5E772F
	v_pk_mul_f32 v[4:5], v[48:49], v[48:49]                    // 0000000056F8: D3B14004 18026130
	v_pk_mul_f32 v[6:7], v[50:51], v[50:51]                    // 000000005700: D3B14006 18026532
	v_pk_fma_f32 v[4:5], v[4:5], s[78:79], v[8:9]              // 000000005708: D3B04004 1C209D04
	v_pk_fma_f32 v[6:7], v[6:7], s[78:79], v[8:9]              // 000000005710: D3B04006 1C209D06
	v_pk_mul_f32 v[4:5], v[4:5], v[48:49]                      // 000000005718: D3B14004 18026104
	v_pk_mul_f32 v[6:7], v[6:7], v[50:51]                      // 000000005720: D3B14006 18026506
	v_pk_mul_f32 v[4:5], v[4:5], s[60:61]                      // 000000005728: D3B14004 18007904
	v_pk_mul_f32 v[6:7], v[6:7], s[60:61]                      // 000000005730: D3B14006 18007906
	v_exp_f32_e32 v4, v4                                       // 000000005738: 7E084104
	v_exp_f32_e32 v5, v5                                       // 00000000573C: 7E0A4105
	v_exp_f32_e32 v6, v6                                       // 000000005740: 7E0C4106
	v_exp_f32_e32 v7, v7                                       // 000000005744: 7E0E4107
	v_add_f32_e64 v4, v4, 1.0                                  // 000000005748: D1010004 0001E504
	v_add_f32_e64 v5, v5, 1.0                                  // 000000005750: D1010005 0001E505
	v_add_f32_e64 v6, v6, 1.0                                  // 000000005758: D1010006 0001E506
	v_add_f32_e64 v7, v7, 1.0                                  // 000000005760: D1010007 0001E507
	v_rcp_f32_e32 v4, v4                                       // 000000005768: 7E084504
	v_rcp_f32_e32 v5, v5                                       // 00000000576C: 7E0A4505
	v_rcp_f32_e32 v6, v6                                       // 000000005770: 7E0C4506
	v_rcp_f32_e32 v7, v7                                       // 000000005774: 7E0E4507
	v_mul_f32_e32 v48, v48, v4                                 // 000000005778: 0A600930
	v_mul_f32_e32 v49, v49, v5                                 // 00000000577C: 0A620B31
	v_mul_f32_e32 v50, v50, v6                                 // 000000005780: 0A640D32
	v_mul_f32_e32 v51, v51, v7                                 // 000000005784: 0A660F33
	v_mul_f32_e32 v48, v48, v60                                // 000000005788: 0A607930
	v_mul_f32_e32 v49, v49, v61                                // 00000000578C: 0A627B31
	v_mul_f32_e32 v50, v50, v62                                // 000000005790: 0A647D32
	v_mul_f32_e32 v51, v51, v63                                // 000000005794: 0A667F33
	s_branch label_0B4A                                        // 000000005798: BF820060

000000000000579c <label_0AEA>:
	v_mul_f32_e64 v4, -v40, s6                                 // 00000000579C: D1050004 20000D28
	v_mul_f32_e64 v5, -v41, s6                                 // 0000000057A4: D1050005 20000D29
	v_mul_f32_e64 v6, -v42, s6                                 // 0000000057AC: D1050006 20000D2A
	v_mul_f32_e64 v7, -v43, s6                                 // 0000000057B4: D1050007 20000D2B
	v_exp_f32_e32 v4, v4                                       // 0000000057BC: 7E084104
	v_exp_f32_e32 v5, v5                                       // 0000000057C0: 7E0A4105
	v_exp_f32_e32 v6, v6                                       // 0000000057C4: 7E0C4106
	v_exp_f32_e32 v7, v7                                       // 0000000057C8: 7E0E4107
	v_add_f32_e64 v4, v4, 1.0                                  // 0000000057CC: D1010004 0001E504
	v_add_f32_e64 v5, v5, 1.0                                  // 0000000057D4: D1010005 0001E505
	v_add_f32_e64 v6, v6, 1.0                                  // 0000000057DC: D1010006 0001E506
	v_add_f32_e64 v7, v7, 1.0                                  // 0000000057E4: D1010007 0001E507
	v_rcp_f32_e32 v4, v4                                       // 0000000057EC: 7E084504
	v_rcp_f32_e32 v5, v5                                       // 0000000057F0: 7E0A4505
	v_rcp_f32_e32 v6, v6                                       // 0000000057F4: 7E0C4506
	v_rcp_f32_e32 v7, v7                                       // 0000000057F8: 7E0E4507
	v_mul_f32_e32 v40, v40, v4                                 // 0000000057FC: 0A500928
	v_mul_f32_e32 v41, v41, v5                                 // 000000005800: 0A520B29
	v_mul_f32_e32 v42, v42, v6                                 // 000000005804: 0A540D2A
	v_mul_f32_e32 v43, v43, v7                                 // 000000005808: 0A560F2B
	v_mul_f32_e32 v40, v40, v52                                // 00000000580C: 0A506928
	v_mul_f32_e32 v41, v41, v53                                // 000000005810: 0A526B29
	v_mul_f32_e32 v42, v42, v54                                // 000000005814: 0A546D2A
	v_mul_f32_e32 v43, v43, v55                                // 000000005818: 0A566F2B
	v_mul_f32_e64 v4, -v44, s6                                 // 00000000581C: D1050004 20000D2C
	v_mul_f32_e64 v5, -v45, s6                                 // 000000005824: D1050005 20000D2D
	v_mul_f32_e64 v6, -v46, s6                                 // 00000000582C: D1050006 20000D2E
	v_mul_f32_e64 v7, -v47, s6                                 // 000000005834: D1050007 20000D2F
	v_exp_f32_e32 v4, v4                                       // 00000000583C: 7E084104
	v_exp_f32_e32 v5, v5                                       // 000000005840: 7E0A4105
	v_exp_f32_e32 v6, v6                                       // 000000005844: 7E0C4106
	v_exp_f32_e32 v7, v7                                       // 000000005848: 7E0E4107
	v_add_f32_e64 v4, v4, 1.0                                  // 00000000584C: D1010004 0001E504
	v_add_f32_e64 v5, v5, 1.0                                  // 000000005854: D1010005 0001E505
	v_add_f32_e64 v6, v6, 1.0                                  // 00000000585C: D1010006 0001E506
	v_add_f32_e64 v7, v7, 1.0                                  // 000000005864: D1010007 0001E507
	v_rcp_f32_e32 v4, v4                                       // 00000000586C: 7E084504
	v_rcp_f32_e32 v5, v5                                       // 000000005870: 7E0A4505
	v_rcp_f32_e32 v6, v6                                       // 000000005874: 7E0C4506
	v_rcp_f32_e32 v7, v7                                       // 000000005878: 7E0E4507
	v_mul_f32_e32 v44, v44, v4                                 // 00000000587C: 0A58092C
	v_mul_f32_e32 v45, v45, v5                                 // 000000005880: 0A5A0B2D
	v_mul_f32_e32 v46, v46, v6                                 // 000000005884: 0A5C0D2E
	v_mul_f32_e32 v47, v47, v7                                 // 000000005888: 0A5E0F2F
	v_mul_f32_e32 v44, v44, v56                                // 00000000588C: 0A58712C
	v_mul_f32_e32 v45, v45, v57                                // 000000005890: 0A5A732D
	v_mul_f32_e32 v46, v46, v58                                // 000000005894: 0A5C752E
	v_mul_f32_e32 v47, v47, v59                                // 000000005898: 0A5E772F
	v_mul_f32_e64 v4, -v48, s6                                 // 00000000589C: D1050004 20000D30
	v_mul_f32_e64 v5, -v49, s6                                 // 0000000058A4: D1050005 20000D31
	v_mul_f32_e64 v6, -v50, s6                                 // 0000000058AC: D1050006 20000D32
	v_mul_f32_e64 v7, -v51, s6                                 // 0000000058B4: D1050007 20000D33
	v_exp_f32_e32 v4, v4                                       // 0000000058BC: 7E084104
	v_exp_f32_e32 v5, v5                                       // 0000000058C0: 7E0A4105
	v_exp_f32_e32 v6, v6                                       // 0000000058C4: 7E0C4106
	v_exp_f32_e32 v7, v7                                       // 0000000058C8: 7E0E4107
	v_add_f32_e64 v4, v4, 1.0                                  // 0000000058CC: D1010004 0001E504
	v_add_f32_e64 v5, v5, 1.0                                  // 0000000058D4: D1010005 0001E505
	v_add_f32_e64 v6, v6, 1.0                                  // 0000000058DC: D1010006 0001E506
	v_add_f32_e64 v7, v7, 1.0                                  // 0000000058E4: D1010007 0001E507
	v_rcp_f32_e32 v4, v4                                       // 0000000058EC: 7E084504
	v_rcp_f32_e32 v5, v5                                       // 0000000058F0: 7E0A4505
	v_rcp_f32_e32 v6, v6                                       // 0000000058F4: 7E0C4506
	v_rcp_f32_e32 v7, v7                                       // 0000000058F8: 7E0E4507
	v_mul_f32_e32 v48, v48, v4                                 // 0000000058FC: 0A600930
	v_mul_f32_e32 v49, v49, v5                                 // 000000005900: 0A620B31
	v_mul_f32_e32 v50, v50, v6                                 // 000000005904: 0A640D32
	v_mul_f32_e32 v51, v51, v7                                 // 000000005908: 0A660F33
	v_mul_f32_e32 v48, v48, v60                                // 00000000590C: 0A607930
	v_mul_f32_e32 v49, v49, v61                                // 000000005910: 0A627B31
	v_mul_f32_e32 v50, v50, v62                                // 000000005914: 0A647D32
	v_mul_f32_e32 v51, v51, v63                                // 000000005918: 0A667F33

000000000000591c <label_0B4A>:
	v_cmp_u_f32_e64 s[46:47], v40, v40                         // 00000000591C: D048002E 00025128
	v_add3_u32 v16, v40, v19, 1                                // 000000005924: D1FF0010 02062728
	v_cndmask_b32_e64 v4, v16, v18, s[46:47]                   // 00000000592C: D1000004 00BA2510
	v_cmp_u_f32_e64 s[46:47], v41, v41                         // 000000005934: D048002E 00025329
	v_add3_u32 v16, v41, v19, 1                                // 00000000593C: D1FF0010 02062729
	v_cndmask_b32_e64 v5, v16, v18, s[46:47]                   // 000000005944: D1000005 00BA2510
	v_perm_b32 v40, v5, v4, s52                                // 00000000594C: D1ED0028 00D20905
	v_cmp_u_f32_e64 s[46:47], v42, v42                         // 000000005954: D048002E 0002552A
	v_add3_u32 v16, v42, v19, 1                                // 00000000595C: D1FF0010 0206272A
	v_cndmask_b32_e64 v4, v16, v18, s[46:47]                   // 000000005964: D1000004 00BA2510
	v_cmp_u_f32_e64 s[46:47], v43, v43                         // 00000000596C: D048002E 0002572B
	v_add3_u32 v16, v43, v19, 1                                // 000000005974: D1FF0010 0206272B
	v_cndmask_b32_e64 v5, v16, v18, s[46:47]                   // 00000000597C: D1000005 00BA2510
	v_perm_b32 v41, v5, v4, s52                                // 000000005984: D1ED0029 00D20905
	v_cmp_u_f32_e64 s[46:47], v44, v44                         // 00000000598C: D048002E 0002592C
	v_add3_u32 v16, v44, v19, 1                                // 000000005994: D1FF0010 0206272C
	v_cndmask_b32_e64 v4, v16, v18, s[46:47]                   // 00000000599C: D1000004 00BA2510
	v_cmp_u_f32_e64 s[46:47], v45, v45                         // 0000000059A4: D048002E 00025B2D
	v_add3_u32 v16, v45, v19, 1                                // 0000000059AC: D1FF0010 0206272D
	v_cndmask_b32_e64 v5, v16, v18, s[46:47]                   // 0000000059B4: D1000005 00BA2510
	v_perm_b32 v42, v5, v4, s52                                // 0000000059BC: D1ED002A 00D20905
	v_cmp_u_f32_e64 s[46:47], v46, v46                         // 0000000059C4: D048002E 00025D2E
	v_add3_u32 v16, v46, v19, 1                                // 0000000059CC: D1FF0010 0206272E
	v_cndmask_b32_e64 v4, v16, v18, s[46:47]                   // 0000000059D4: D1000004 00BA2510
	v_cmp_u_f32_e64 s[46:47], v47, v47                         // 0000000059DC: D048002E 00025F2F
	v_add3_u32 v16, v47, v19, 1                                // 0000000059E4: D1FF0010 0206272F
	v_cndmask_b32_e64 v5, v16, v18, s[46:47]                   // 0000000059EC: D1000005 00BA2510
	v_perm_b32 v43, v5, v4, s52                                // 0000000059F4: D1ED002B 00D20905
	v_cmp_u_f32_e64 s[46:47], v48, v48                         // 0000000059FC: D048002E 00026130
	v_add3_u32 v16, v48, v19, 1                                // 000000005A04: D1FF0010 02062730
	v_cndmask_b32_e64 v4, v16, v18, s[46:47]                   // 000000005A0C: D1000004 00BA2510
	v_cmp_u_f32_e64 s[46:47], v49, v49                         // 000000005A14: D048002E 00026331
	v_add3_u32 v16, v49, v19, 1                                // 000000005A1C: D1FF0010 02062731
	v_cndmask_b32_e64 v5, v16, v18, s[46:47]                   // 000000005A24: D1000005 00BA2510
	v_perm_b32 v44, v5, v4, s52                                // 000000005A2C: D1ED002C 00D20905
	v_cmp_u_f32_e64 s[46:47], v50, v50                         // 000000005A34: D048002E 00026532
	v_add3_u32 v16, v50, v19, 1                                // 000000005A3C: D1FF0010 02062732
	v_cndmask_b32_e64 v4, v16, v18, s[46:47]                   // 000000005A44: D1000004 00BA2510
	v_cmp_u_f32_e64 s[46:47], v51, v51                         // 000000005A4C: D048002E 00026733
	v_add3_u32 v16, v51, v19, 1                                // 000000005A54: D1FF0010 02062733
	v_cndmask_b32_e64 v5, v16, v18, s[46:47]                   // 000000005A5C: D1000005 00BA2510
	v_perm_b32 v45, v5, v4, s52                                // 000000005A64: D1ED002D 00D20905
	ds_write_b64 v20, v[40:41]                                 // 000000005A6C: D89A0000 00002814
	ds_write_b64 v20, v[42:43] offset:2176                     // 000000005A74: D89A0880 00002A14
	ds_write_b64 v20, v[44:45] offset:4352                     // 000000005A7C: D89A1100 00002C14
	v_lshrrev_b32_e32 v4, 5, v0                                // 000000005A84: 20080085
	v_xor_b32_e32 v5, 1, v4                                    // 000000005A88: 2A0A0881
	s_mul_i32 s60, s65, 2                                      // 000000005A8C: 923C8241
	s_cmp_eq_u32 s88, 0                                        // 000000005A90: BF068058
	s_cselect_b32 s61, 1, 4                                    // 000000005A94: 853D8481
	s_mul_i32 s60, s61, s60                                    // 000000005A98: 923C3C3D
	v_readlane_b32 s82, v3, 0                                  // 000000005A9C: D2890052 00010103
	s_lshr_b32 s61, s82, 24                                    // 000000005AA4: 8F3D9852
	s_and_b32 s82, s82, 0xffffff                               // 000000005AA8: 8652FF52 00FFFFFF
	s_mul_i32 s82, s82, s71                                    // 000000005AB0: 92524752
	s_mul_i32 s61, s60, s61                                    // 000000005AB4: 923D3D3C
	s_add_u32 s82, s82, s61                                    // 000000005AB8: 80523D52
	v_mul_lo_u32 v6, v5, s82                                   // 000000005ABC: D2850006 0000A505
	v_readlane_b32 s82, v3, 1                                  // 000000005AC4: D2890052 00010303
	s_lshr_b32 s61, s82, 24                                    // 000000005ACC: 8F3D9852
	s_and_b32 s82, s82, 0xffffff                               // 000000005AD0: 8652FF52 00FFFFFF
	s_mul_i32 s82, s82, s71                                    // 000000005AD8: 92524752
	s_mul_i32 s61, s60, s61                                    // 000000005ADC: 923D3D3C
	s_add_u32 s82, s82, s61                                    // 000000005AE0: 80523D52
	v_mul_lo_u32 v7, v4, s82                                   // 000000005AE4: D2850007 0000A504
	v_add_u32_e32 v34, v6, v7                                  // 000000005AEC: 68440F06
	v_readlane_b32 s82, v3, 2                                  // 000000005AF0: D2890052 00010503
	s_lshr_b32 s61, s82, 24                                    // 000000005AF8: 8F3D9852
	s_and_b32 s82, s82, 0xffffff                               // 000000005AFC: 8652FF52 00FFFFFF
	s_mul_i32 s82, s82, s71                                    // 000000005B04: 92524752
	s_mul_i32 s61, s60, s61                                    // 000000005B08: 923D3D3C
	s_add_u32 s82, s82, s61                                    // 000000005B0C: 80523D52
	v_mul_lo_u32 v6, v5, s82                                   // 000000005B10: D2850006 0000A505
	v_readlane_b32 s82, v3, 3                                  // 000000005B18: D2890052 00010703
	s_lshr_b32 s61, s82, 24                                    // 000000005B20: 8F3D9852
	s_and_b32 s82, s82, 0xffffff                               // 000000005B24: 8652FF52 00FFFFFF
	s_mul_i32 s82, s82, s71                                    // 000000005B2C: 92524752
	s_mul_i32 s61, s60, s61                                    // 000000005B30: 923D3D3C
	s_add_u32 s82, s82, s61                                    // 000000005B34: 80523D52
	v_mul_lo_u32 v7, v4, s82                                   // 000000005B38: D2850007 0000A504
	v_add_u32_e32 v35, v6, v7                                  // 000000005B40: 68460F06
	v_and_b32_e32 v4, 31, v0                                   // 000000005B44: 2608009F
	v_lshrrev_b32_e32 v4, 1, v4                                // 000000005B48: 20080881
	s_cmp_eq_u32 s88, 0                                        // 000000005B4C: BF068058
	s_cselect_b32 s61, 2, 4                                    // 000000005B50: 853D8482
	v_mul_lo_u32 v4, v4, s61                                   // 000000005B54: D2850004 00007B04
	v_and_b32_e64 v5, v0, 1                                    // 000000005B5C: D1130005 00010300
	v_add_u32_e32 v4, v4, v5                                   // 000000005B64: 68080B04
	v_lshlrev_b32_e32 v4, 2, v4                                // 000000005B68: 24080882
	v_add_u32_e32 v34, v34, v4                                 // 000000005B6C: 68440922
	v_add_u32_e32 v35, v35, v4                                 // 000000005B70: 68460923
	s_waitcnt lgkmcnt(0)                                       // 000000005B74: BF8CC07F
	s_barrier                                                  // 000000005B78: BF8A0000
	ds_read_b32 v40, v21                                       // 000000005B7C: D86C0000 28000015
	ds_read_b32 v41, v21 offset:64                             // 000000005B84: D86C0040 29000015
	ds_read_b32 v42, v21 offset:2176                           // 000000005B8C: D86C0880 2A000015
	ds_read_b32 v43, v21 offset:2240                           // 000000005B94: D86C08C0 2B000015
	ds_read_b32 v44, v21 offset:4352                           // 000000005B9C: D86C1100 2C000015
	ds_read_b32 v45, v21 offset:4416                           // 000000005BA4: D86C1140 2D000015
	s_waitcnt lgkmcnt(0)                                       // 000000005BAC: BF8CC07F
	s_mov_b32 s36, -1                                          // 000000005BB0: BEA400C1
	s_mov_b32 s37, -1                                          // 000000005BB4: BEA500C1
	v_mov_b32_e32 v7, 0                                        // 000000005BB8: 7E0E0280
	s_or_b32 s9, s9, 0x40000                                   // 000000005BBC: 8709FF09 00040000
	s_mov_b64 exec, s[36:37]                                   // 000000005BC4: BEFE0124
	v_mov_b32_e32 v6, v34                                      // 000000005BC8: 7E0C0322
	s_mov_b64 s[60:61], 0                                      // 000000005BCC: BEBC0180
	v_readlane_b32 s82, v3, 0                                  // 000000005BD0: D2890052 00010103
	s_and_b32 s82, s82, 0xffffff                               // 000000005BD8: 8652FF52 00FFFFFF
	s_cmp_lt_u32 s82, s66                                      // 000000005BE0: BF0A4252
	s_cselect_b32 s20, s36, s60                                // 000000005BE4: 85143C24
	v_readlane_b32 s82, v3, 1                                  // 000000005BE8: D2890052 00010303
	s_and_b32 s82, s82, 0xffffff                               // 000000005BF0: 8652FF52 00FFFFFF
	s_cmp_lt_u32 s82, s66                                      // 000000005BF8: BF0A4252
	s_cselect_b32 s21, s36, s60                                // 000000005BFC: 85153C24
	s_mov_b64 exec, s[20:21]                                   // 000000005C00: BEFE0114
	buffer_store_dword v40, v6, s[8:11], 0 offen               // 000000005C04: E0701000 80022806
	buffer_store_dword v42, v6, s[8:11], 0 offen offset:128    // 000000005C0C: E0701080 80022A06
	buffer_store_dword v44, v6, s[8:11], 0 offen offset:256    // 000000005C14: E0701100 80022C06
	s_mov_b64 exec, s[36:37]                                   // 000000005C1C: BEFE0124
	v_mov_b32_e32 v6, v35                                      // 000000005C20: 7E0C0323
	s_mov_b64 s[60:61], 0                                      // 000000005C24: BEBC0180
	v_readlane_b32 s82, v3, 2                                  // 000000005C28: D2890052 00010503
	s_and_b32 s82, s82, 0xffffff                               // 000000005C30: 8652FF52 00FFFFFF
	s_cmp_lt_u32 s82, s66                                      // 000000005C38: BF0A4252
	s_cselect_b32 s20, s36, s60                                // 000000005C3C: 85143C24
	v_readlane_b32 s82, v3, 3                                  // 000000005C40: D2890052 00010703
	s_and_b32 s82, s82, 0xffffff                               // 000000005C48: 8652FF52 00FFFFFF
	s_cmp_lt_u32 s82, s66                                      // 000000005C50: BF0A4252
	s_cselect_b32 s21, s36, s60                                // 000000005C54: 85153C24
	s_mov_b64 exec, s[20:21]                                   // 000000005C58: BEFE0114
	buffer_store_dword v41, v6, s[8:11], 0 offen               // 000000005C5C: E0701000 80022906
	buffer_store_dword v43, v6, s[8:11], 0 offen offset:128    // 000000005C64: E0701080 80022B06
	buffer_store_dword v45, v6, s[8:11], 0 offen offset:256    // 000000005C6C: E0701100 80022D06
	s_mov_b64 exec, s[36:37]                                   // 000000005C74: BEFE0124
	s_branch label_0D70                                        // 000000005C78: BF82014E

0000000000005c7c <label_0C22>:
	ds_write_b64 v20, v[40:41]                                 // 000000005C7C: D89A0000 00002814
	ds_write_b64 v20, v[44:45] offset:2176                     // 000000005C84: D89A0880 00002C14
	ds_write_b64 v20, v[48:49] offset:4352                     // 000000005C8C: D89A1100 00003014
	v_lshrrev_b32_e32 v4, 5, v0                                // 000000005C94: 20080085
	v_xor_b32_e32 v5, 1, v4                                    // 000000005C98: 2A0A0881
	s_mul_i32 s60, s65, 2                                      // 000000005C9C: 923C8241
	s_cmp_eq_u32 s88, 0                                        // 000000005CA0: BF068058
	s_cselect_b32 s61, 1, 4                                    // 000000005CA4: 853D8481
	s_mul_i32 s60, s61, s60                                    // 000000005CA8: 923C3C3D
	v_readlane_b32 s82, v3, 0                                  // 000000005CAC: D2890052 00010103
	s_lshr_b32 s61, s82, 24                                    // 000000005CB4: 8F3D9852
	s_and_b32 s82, s82, 0xffffff                               // 000000005CB8: 8652FF52 00FFFFFF
	s_mul_i32 s82, s82, s71                                    // 000000005CC0: 92524752
	s_mul_i32 s61, s60, s61                                    // 000000005CC4: 923D3D3C
	s_add_u32 s82, s82, s61                                    // 000000005CC8: 80523D52
	v_mul_lo_u32 v6, v5, s82                                   // 000000005CCC: D2850006 0000A505
	v_readlane_b32 s82, v3, 1                                  // 000000005CD4: D2890052 00010303
	s_lshr_b32 s61, s82, 24                                    // 000000005CDC: 8F3D9852
	s_and_b32 s82, s82, 0xffffff                               // 000000005CE0: 8652FF52 00FFFFFF
	s_mul_i32 s82, s82, s71                                    // 000000005CE8: 92524752
	s_mul_i32 s61, s60, s61                                    // 000000005CEC: 923D3D3C
	s_add_u32 s82, s82, s61                                    // 000000005CF0: 80523D52
	v_mul_lo_u32 v7, v4, s82                                   // 000000005CF4: D2850007 0000A504
	v_add_u32_e32 v34, v6, v7                                  // 000000005CFC: 68440F06
	v_readlane_b32 s82, v3, 2                                  // 000000005D00: D2890052 00010503
	s_lshr_b32 s61, s82, 24                                    // 000000005D08: 8F3D9852
	s_and_b32 s82, s82, 0xffffff                               // 000000005D0C: 8652FF52 00FFFFFF
	s_mul_i32 s82, s82, s71                                    // 000000005D14: 92524752
	s_mul_i32 s61, s60, s61                                    // 000000005D18: 923D3D3C
	s_add_u32 s82, s82, s61                                    // 000000005D1C: 80523D52
	v_mul_lo_u32 v6, v5, s82                                   // 000000005D20: D2850006 0000A505
	v_readlane_b32 s82, v3, 3                                  // 000000005D28: D2890052 00010703
	s_lshr_b32 s61, s82, 24                                    // 000000005D30: 8F3D9852
	s_and_b32 s82, s82, 0xffffff                               // 000000005D34: 8652FF52 00FFFFFF
	s_mul_i32 s82, s82, s71                                    // 000000005D3C: 92524752
	s_mul_i32 s61, s60, s61                                    // 000000005D40: 923D3D3C
	s_add_u32 s82, s82, s61                                    // 000000005D44: 80523D52
	v_mul_lo_u32 v7, v4, s82                                   // 000000005D48: D2850007 0000A504
	v_add_u32_e32 v35, v6, v7                                  // 000000005D50: 68460F06
	v_and_b32_e32 v4, 31, v0                                   // 000000005D54: 2608009F
	v_lshrrev_b32_e32 v4, 1, v4                                // 000000005D58: 20080881
	s_cmp_eq_u32 s88, 0                                        // 000000005D5C: BF068058
	s_cselect_b32 s61, 2, 4                                    // 000000005D60: 853D8482
	v_mul_lo_u32 v4, v4, s61                                   // 000000005D64: D2850004 00007B04
	v_and_b32_e64 v5, v0, 1                                    // 000000005D6C: D1130005 00010300
	v_add_u32_e32 v4, v4, v5                                   // 000000005D74: 68080B04
	v_lshlrev_b32_e32 v4, 2, v4                                // 000000005D78: 24080882
	v_add_u32_e32 v34, v34, v4                                 // 000000005D7C: 68440922
	v_add_u32_e32 v35, v35, v4                                 // 000000005D80: 68460923
	s_waitcnt lgkmcnt(0)                                       // 000000005D84: BF8CC07F
	s_barrier                                                  // 000000005D88: BF8A0000
	ds_read_b32 v40, v21                                       // 000000005D8C: D86C0000 28000015
	ds_read_b32 v41, v21 offset:64                             // 000000005D94: D86C0040 29000015
	ds_read_b32 v44, v21 offset:2176                           // 000000005D9C: D86C0880 2C000015
	ds_read_b32 v45, v21 offset:2240                           // 000000005DA4: D86C08C0 2D000015
	ds_read_b32 v48, v21 offset:4352                           // 000000005DAC: D86C1100 30000015
	ds_read_b32 v49, v21 offset:4416                           // 000000005DB4: D86C1140 31000015
	s_waitcnt lgkmcnt(0)                                       // 000000005DBC: BF8CC07F
	s_mov_b32 s36, -1                                          // 000000005DC0: BEA400C1
	s_mov_b32 s37, -1                                          // 000000005DC4: BEA500C1
	v_mov_b32_e32 v7, 0                                        // 000000005DC8: 7E0E0280
	s_mov_b64 exec, s[36:37]                                   // 000000005DCC: BEFE0124
	v_mov_b32_e32 v6, v34                                      // 000000005DD0: 7E0C0322
	s_mov_b64 s[60:61], 0                                      // 000000005DD4: BEBC0180
	v_readlane_b32 s82, v3, 0                                  // 000000005DD8: D2890052 00010103
	s_and_b32 s82, s82, 0xffffff                               // 000000005DE0: 8652FF52 00FFFFFF
	s_cmp_lt_u32 s82, s66                                      // 000000005DE8: BF0A4252
	s_cselect_b32 s20, s36, s60                                // 000000005DEC: 85143C24
	v_readlane_b32 s82, v3, 1                                  // 000000005DF0: D2890052 00010303
	s_and_b32 s82, s82, 0xffffff                               // 000000005DF8: 8652FF52 00FFFFFF
	s_cmp_lt_u32 s82, s66                                      // 000000005E00: BF0A4252
	s_cselect_b32 s21, s36, s60                                // 000000005E04: 85153C24
	s_mov_b64 exec, s[20:21]                                   // 000000005E08: BEFE0114
	global_atomic_add_f32 v6, v40, s[8:9]                      // 000000005E0C: DD348000 00082806
	global_atomic_add_f32 v6, v44, s[8:9] offset:256           // 000000005E14: DD348100 00082C06
	global_atomic_add_f32 v6, v48, s[8:9] offset:512           // 000000005E1C: DD348200 00083006
	s_mov_b64 exec, s[36:37]                                   // 000000005E24: BEFE0124
	v_mov_b32_e32 v6, v35                                      // 000000005E28: 7E0C0323
	s_mov_b64 s[60:61], 0                                      // 000000005E2C: BEBC0180
	v_readlane_b32 s82, v3, 2                                  // 000000005E30: D2890052 00010503
	s_and_b32 s82, s82, 0xffffff                               // 000000005E38: 8652FF52 00FFFFFF
	s_cmp_lt_u32 s82, s66                                      // 000000005E40: BF0A4252
	s_cselect_b32 s20, s36, s60                                // 000000005E44: 85143C24
	v_readlane_b32 s82, v3, 3                                  // 000000005E48: D2890052 00010703
	s_and_b32 s82, s82, 0xffffff                               // 000000005E50: 8652FF52 00FFFFFF
	s_cmp_lt_u32 s82, s66                                      // 000000005E58: BF0A4252
	s_cselect_b32 s21, s36, s60                                // 000000005E5C: 85153C24
	s_mov_b64 exec, s[20:21]                                   // 000000005E60: BEFE0114
	global_atomic_add_f32 v6, v41, s[8:9]                      // 000000005E64: DD348000 00082906
	global_atomic_add_f32 v6, v45, s[8:9] offset:256           // 000000005E6C: DD348100 00082D06
	global_atomic_add_f32 v6, v49, s[8:9] offset:512           // 000000005E74: DD348200 00083106
	s_mov_b64 exec, s[36:37]                                   // 000000005E7C: BEFE0124
	ds_write_b64 v20, v[42:43]                                 // 000000005E80: D89A0000 00002A14
	ds_write_b64 v20, v[46:47] offset:2176                     // 000000005E88: D89A0880 00002E14
	ds_write_b64 v20, v[50:51] offset:4352                     // 000000005E90: D89A1100 00003214
	s_waitcnt lgkmcnt(0)                                       // 000000005E98: BF8CC07F
	s_barrier                                                  // 000000005E9C: BF8A0000
	ds_read_b32 v42, v21                                       // 000000005EA0: D86C0000 2A000015
	ds_read_b32 v43, v21 offset:64                             // 000000005EA8: D86C0040 2B000015
	ds_read_b32 v46, v21 offset:2176                           // 000000005EB0: D86C0880 2E000015
	ds_read_b32 v47, v21 offset:2240                           // 000000005EB8: D86C08C0 2F000015
	ds_read_b32 v50, v21 offset:4352                           // 000000005EC0: D86C1100 32000015
	ds_read_b32 v51, v21 offset:4416                           // 000000005EC8: D86C1140 33000015
	s_waitcnt lgkmcnt(0)                                       // 000000005ED0: BF8CC07F
	v_mov_b32_e32 v7, 0                                        // 000000005ED4: 7E0E0280
	s_mov_b64 exec, s[36:37]                                   // 000000005ED8: BEFE0124
	v_mov_b32_e32 v6, v34                                      // 000000005EDC: 7E0C0322
	s_mov_b64 s[60:61], 0                                      // 000000005EE0: BEBC0180
	v_readlane_b32 s82, v3, 0                                  // 000000005EE4: D2890052 00010103
	s_and_b32 s82, s82, 0xffffff                               // 000000005EEC: 8652FF52 00FFFFFF
	s_cmp_lt_u32 s82, s66                                      // 000000005EF4: BF0A4252
	s_cselect_b32 s20, s36, s60                                // 000000005EF8: 85143C24
	v_readlane_b32 s82, v3, 1                                  // 000000005EFC: D2890052 00010303
	s_and_b32 s82, s82, 0xffffff                               // 000000005F04: 8652FF52 00FFFFFF
	s_cmp_lt_u32 s82, s66                                      // 000000005F0C: BF0A4252
	s_cselect_b32 s21, s36, s60                                // 000000005F10: 85153C24
	s_mov_b64 exec, s[20:21]                                   // 000000005F14: BEFE0114
	global_atomic_add_f32 v6, v42, s[8:9] offset:8             // 000000005F18: DD348008 00082A06
	global_atomic_add_f32 v6, v46, s[8:9] offset:264           // 000000005F20: DD348108 00082E06
	global_atomic_add_f32 v6, v50, s[8:9] offset:520           // 000000005F28: DD348208 00083206
	s_mov_b64 exec, s[36:37]                                   // 000000005F30: BEFE0124
	v_mov_b32_e32 v6, v35                                      // 000000005F34: 7E0C0323
	s_mov_b64 s[60:61], 0                                      // 000000005F38: BEBC0180
	v_readlane_b32 s82, v3, 2                                  // 000000005F3C: D2890052 00010503
	s_and_b32 s82, s82, 0xffffff                               // 000000005F44: 8652FF52 00FFFFFF
	s_cmp_lt_u32 s82, s66                                      // 000000005F4C: BF0A4252
	s_cselect_b32 s20, s36, s60                                // 000000005F50: 85143C24
	v_readlane_b32 s82, v3, 3                                  // 000000005F54: D2890052 00010703
	s_and_b32 s82, s82, 0xffffff                               // 000000005F5C: 8652FF52 00FFFFFF
	s_cmp_lt_u32 s82, s66                                      // 000000005F64: BF0A4252
	s_cselect_b32 s21, s36, s60                                // 000000005F68: 85153C24
	s_mov_b64 exec, s[20:21]                                   // 000000005F6C: BEFE0114
	global_atomic_add_f32 v6, v43, s[8:9] offset:8             // 000000005F70: DD348008 00082B06
	global_atomic_add_f32 v6, v47, s[8:9] offset:264           // 000000005F78: DD348108 00082F06
	global_atomic_add_f32 v6, v51, s[8:9] offset:520           // 000000005F80: DD348208 00083306
	s_mov_b64 exec, s[36:37]                                   // 000000005F88: BEFE0124
	ds_write_b64 v20, v[52:53]                                 // 000000005F8C: D89A0000 00003414
	ds_write_b64 v20, v[56:57] offset:2176                     // 000000005F94: D89A0880 00003814
	ds_write_b64 v20, v[60:61] offset:4352                     // 000000005F9C: D89A1100 00003C14
	s_waitcnt lgkmcnt(0)                                       // 000000005FA4: BF8CC07F
	s_barrier                                                  // 000000005FA8: BF8A0000
	ds_read_b32 v52, v21                                       // 000000005FAC: D86C0000 34000015
	ds_read_b32 v53, v21 offset:64                             // 000000005FB4: D86C0040 35000015
	ds_read_b32 v56, v21 offset:2176                           // 000000005FBC: D86C0880 38000015
	ds_read_b32 v57, v21 offset:2240                           // 000000005FC4: D86C08C0 39000015
	ds_read_b32 v60, v21 offset:4352                           // 000000005FCC: D86C1100 3C000015
	ds_read_b32 v61, v21 offset:4416                           // 000000005FD4: D86C1140 3D000015
	s_mul_i32 s60, s65, 4                                      // 000000005FDC: 923C8441
	s_add_u32 s8, s60, s8                                      // 000000005FE0: 8008083C
	s_addc_u32 s9, 0, s9                                       // 000000005FE4: 82090980
	s_waitcnt lgkmcnt(0)                                       // 000000005FE8: BF8CC07F
	v_mov_b32_e32 v7, 0                                        // 000000005FEC: 7E0E0280
	s_mov_b64 exec, s[36:37]                                   // 000000005FF0: BEFE0124
	v_mov_b32_e32 v6, v34                                      // 000000005FF4: 7E0C0322
	s_mov_b64 s[60:61], 0                                      // 000000005FF8: BEBC0180
	v_readlane_b32 s82, v3, 0                                  // 000000005FFC: D2890052 00010103
	s_and_b32 s82, s82, 0xffffff                               // 000000006004: 8652FF52 00FFFFFF
	s_cmp_lt_u32 s82, s66                                      // 00000000600C: BF0A4252
	s_cselect_b32 s20, s36, s60                                // 000000006010: 85143C24
	v_readlane_b32 s82, v3, 1                                  // 000000006014: D2890052 00010303
	s_and_b32 s82, s82, 0xffffff                               // 00000000601C: 8652FF52 00FFFFFF
	s_cmp_lt_u32 s82, s66                                      // 000000006024: BF0A4252
	s_cselect_b32 s21, s36, s60                                // 000000006028: 85153C24
	s_mov_b64 exec, s[20:21]                                   // 00000000602C: BEFE0114
	global_atomic_add_f32 v6, v52, s[8:9]                      // 000000006030: DD348000 00083406
	global_atomic_add_f32 v6, v56, s[8:9] offset:256           // 000000006038: DD348100 00083806
	global_atomic_add_f32 v6, v60, s[8:9] offset:512           // 000000006040: DD348200 00083C06
	s_mov_b64 exec, s[36:37]                                   // 000000006048: BEFE0124
	v_mov_b32_e32 v6, v35                                      // 00000000604C: 7E0C0323
	s_mov_b64 s[60:61], 0                                      // 000000006050: BEBC0180
	v_readlane_b32 s82, v3, 2                                  // 000000006054: D2890052 00010503
	s_and_b32 s82, s82, 0xffffff                               // 00000000605C: 8652FF52 00FFFFFF
	s_cmp_lt_u32 s82, s66                                      // 000000006064: BF0A4252
	s_cselect_b32 s20, s36, s60                                // 000000006068: 85143C24
	v_readlane_b32 s82, v3, 3                                  // 00000000606C: D2890052 00010703
	s_and_b32 s82, s82, 0xffffff                               // 000000006074: 8652FF52 00FFFFFF
	s_cmp_lt_u32 s82, s66                                      // 00000000607C: BF0A4252
	s_cselect_b32 s21, s36, s60                                // 000000006080: 85153C24
	s_mov_b64 exec, s[20:21]                                   // 000000006084: BEFE0114
	global_atomic_add_f32 v6, v53, s[8:9]                      // 000000006088: DD348000 00083506
	global_atomic_add_f32 v6, v57, s[8:9] offset:256           // 000000006090: DD348100 00083906
	global_atomic_add_f32 v6, v61, s[8:9] offset:512           // 000000006098: DD348200 00083D06
	s_mov_b64 exec, s[36:37]                                   // 0000000060A0: BEFE0124
	ds_write_b64 v20, v[54:55]                                 // 0000000060A4: D89A0000 00003614
	ds_write_b64 v20, v[58:59] offset:2176                     // 0000000060AC: D89A0880 00003A14
	ds_write_b64 v20, v[62:63] offset:4352                     // 0000000060B4: D89A1100 00003E14
	s_waitcnt lgkmcnt(0)                                       // 0000000060BC: BF8CC07F
	s_barrier                                                  // 0000000060C0: BF8A0000
	ds_read_b32 v54, v21                                       // 0000000060C4: D86C0000 36000015
	ds_read_b32 v55, v21 offset:64                             // 0000000060CC: D86C0040 37000015
	ds_read_b32 v58, v21 offset:2176                           // 0000000060D4: D86C0880 3A000015
	ds_read_b32 v59, v21 offset:2240                           // 0000000060DC: D86C08C0 3B000015
	ds_read_b32 v62, v21 offset:4352                           // 0000000060E4: D86C1100 3E000015
	ds_read_b32 v63, v21 offset:4416                           // 0000000060EC: D86C1140 3F000015
	s_waitcnt lgkmcnt(0)                                       // 0000000060F4: BF8CC07F
	v_mov_b32_e32 v7, 0                                        // 0000000060F8: 7E0E0280
	s_mov_b64 exec, s[36:37]                                   // 0000000060FC: BEFE0124
	v_mov_b32_e32 v6, v34                                      // 000000006100: 7E0C0322
	s_mov_b64 s[60:61], 0                                      // 000000006104: BEBC0180
	v_readlane_b32 s82, v3, 0                                  // 000000006108: D2890052 00010103
	s_and_b32 s82, s82, 0xffffff                               // 000000006110: 8652FF52 00FFFFFF
	s_cmp_lt_u32 s82, s66                                      // 000000006118: BF0A4252
	s_cselect_b32 s20, s36, s60                                // 00000000611C: 85143C24
	v_readlane_b32 s82, v3, 1                                  // 000000006120: D2890052 00010303
	s_and_b32 s82, s82, 0xffffff                               // 000000006128: 8652FF52 00FFFFFF
	s_cmp_lt_u32 s82, s66                                      // 000000006130: BF0A4252
	s_cselect_b32 s21, s36, s60                                // 000000006134: 85153C24
	s_mov_b64 exec, s[20:21]                                   // 000000006138: BEFE0114
	global_atomic_add_f32 v6, v54, s[8:9] offset:8             // 00000000613C: DD348008 00083606
	global_atomic_add_f32 v6, v58, s[8:9] offset:264           // 000000006144: DD348108 00083A06
	global_atomic_add_f32 v6, v62, s[8:9] offset:520           // 00000000614C: DD348208 00083E06
	s_mov_b64 exec, s[36:37]                                   // 000000006154: BEFE0124
	v_mov_b32_e32 v6, v35                                      // 000000006158: 7E0C0323
	s_mov_b64 s[60:61], 0                                      // 00000000615C: BEBC0180
	v_readlane_b32 s82, v3, 2                                  // 000000006160: D2890052 00010503
	s_and_b32 s82, s82, 0xffffff                               // 000000006168: 8652FF52 00FFFFFF
	s_cmp_lt_u32 s82, s66                                      // 000000006170: BF0A4252
	s_cselect_b32 s20, s36, s60                                // 000000006174: 85143C24
	v_readlane_b32 s82, v3, 3                                  // 000000006178: D2890052 00010703
	s_and_b32 s82, s82, 0xffffff                               // 000000006180: 8652FF52 00FFFFFF
	s_cmp_lt_u32 s82, s66                                      // 000000006188: BF0A4252
	s_cselect_b32 s21, s36, s60                                // 00000000618C: 85153C24
	s_mov_b64 exec, s[20:21]                                   // 000000006190: BEFE0114
	global_atomic_add_f32 v6, v55, s[8:9] offset:8             // 000000006194: DD348008 00083706
	global_atomic_add_f32 v6, v59, s[8:9] offset:264           // 00000000619C: DD348108 00083B06
	global_atomic_add_f32 v6, v63, s[8:9] offset:520           // 0000000061A4: DD348208 00083F06
	s_mov_b64 exec, s[36:37]                                   // 0000000061AC: BEFE0124
	s_branch label_0D70                                        // 0000000061B0: BF820000

00000000000061b4 <label_0D70>:
	s_waitcnt vmcnt(0) expcnt(0) lgkmcnt(0)                    // 0000000061B4: BF8C0000
	s_endpgm                                                   // 0000000061B8: BF810000
